;; amdgpu-corpus repo=ROCm/rocFFT kind=compiled arch=gfx1030 opt=O3
	.text
	.amdgcn_target "amdgcn-amd-amdhsa--gfx1030"
	.amdhsa_code_object_version 6
	.protected	fft_rtc_fwd_len2880_factors_10_6_6_2_2_2_wgs_96_tpt_96_halfLds_half_ip_CI_sbrr_dirReg ; -- Begin function fft_rtc_fwd_len2880_factors_10_6_6_2_2_2_wgs_96_tpt_96_halfLds_half_ip_CI_sbrr_dirReg
	.globl	fft_rtc_fwd_len2880_factors_10_6_6_2_2_2_wgs_96_tpt_96_halfLds_half_ip_CI_sbrr_dirReg
	.p2align	8
	.type	fft_rtc_fwd_len2880_factors_10_6_6_2_2_2_wgs_96_tpt_96_halfLds_half_ip_CI_sbrr_dirReg,@function
fft_rtc_fwd_len2880_factors_10_6_6_2_2_2_wgs_96_tpt_96_halfLds_half_ip_CI_sbrr_dirReg: ; @fft_rtc_fwd_len2880_factors_10_6_6_2_2_2_wgs_96_tpt_96_halfLds_half_ip_CI_sbrr_dirReg
; %bb.0:
	s_clause 0x2
	s_load_dwordx2 s[14:15], s[4:5], 0x18
	s_load_dwordx4 s[8:11], s[4:5], 0x0
	s_load_dwordx2 s[12:13], s[4:5], 0x50
	v_mul_u32_u24_e32 v1, 0x2ab, v0
	v_mov_b32_e32 v3, 0
	v_add_nc_u32_sdwa v5, s6, v1 dst_sel:DWORD dst_unused:UNUSED_PAD src0_sel:DWORD src1_sel:WORD_1
	v_mov_b32_e32 v1, 0
	v_mov_b32_e32 v6, v3
	v_mov_b32_e32 v2, 0
	s_waitcnt lgkmcnt(0)
	s_load_dwordx2 s[2:3], s[14:15], 0x0
	v_cmp_lt_u64_e64 s0, s[10:11], 2
	s_and_b32 vcc_lo, exec_lo, s0
	s_cbranch_vccnz .LBB0_8
; %bb.1:
	s_load_dwordx2 s[0:1], s[4:5], 0x10
	v_mov_b32_e32 v1, 0
	s_add_u32 s6, s14, 8
	v_mov_b32_e32 v2, 0
	s_addc_u32 s7, s15, 0
	s_mov_b64 s[18:19], 1
	s_waitcnt lgkmcnt(0)
	s_add_u32 s16, s0, 8
	s_addc_u32 s17, s1, 0
.LBB0_2:                                ; =>This Inner Loop Header: Depth=1
	s_load_dwordx2 s[20:21], s[16:17], 0x0
                                        ; implicit-def: $vgpr7_vgpr8
	s_mov_b32 s0, exec_lo
	s_waitcnt lgkmcnt(0)
	v_or_b32_e32 v4, s21, v6
	v_cmpx_ne_u64_e32 0, v[3:4]
	s_xor_b32 s1, exec_lo, s0
	s_cbranch_execz .LBB0_4
; %bb.3:                                ;   in Loop: Header=BB0_2 Depth=1
	v_cvt_f32_u32_e32 v4, s20
	v_cvt_f32_u32_e32 v7, s21
	s_sub_u32 s0, 0, s20
	s_subb_u32 s22, 0, s21
	v_fmac_f32_e32 v4, 0x4f800000, v7
	v_rcp_f32_e32 v4, v4
	v_mul_f32_e32 v4, 0x5f7ffffc, v4
	v_mul_f32_e32 v7, 0x2f800000, v4
	v_trunc_f32_e32 v7, v7
	v_fmac_f32_e32 v4, 0xcf800000, v7
	v_cvt_u32_f32_e32 v7, v7
	v_cvt_u32_f32_e32 v4, v4
	v_mul_lo_u32 v8, s0, v7
	v_mul_hi_u32 v9, s0, v4
	v_mul_lo_u32 v10, s22, v4
	v_add_nc_u32_e32 v8, v9, v8
	v_mul_lo_u32 v9, s0, v4
	v_add_nc_u32_e32 v8, v8, v10
	v_mul_hi_u32 v10, v4, v9
	v_mul_lo_u32 v11, v4, v8
	v_mul_hi_u32 v12, v4, v8
	v_mul_hi_u32 v13, v7, v9
	v_mul_lo_u32 v9, v7, v9
	v_mul_hi_u32 v14, v7, v8
	v_mul_lo_u32 v8, v7, v8
	v_add_co_u32 v10, vcc_lo, v10, v11
	v_add_co_ci_u32_e32 v11, vcc_lo, 0, v12, vcc_lo
	v_add_co_u32 v9, vcc_lo, v10, v9
	v_add_co_ci_u32_e32 v9, vcc_lo, v11, v13, vcc_lo
	v_add_co_ci_u32_e32 v10, vcc_lo, 0, v14, vcc_lo
	v_add_co_u32 v8, vcc_lo, v9, v8
	v_add_co_ci_u32_e32 v9, vcc_lo, 0, v10, vcc_lo
	v_add_co_u32 v4, vcc_lo, v4, v8
	v_add_co_ci_u32_e32 v7, vcc_lo, v7, v9, vcc_lo
	v_mul_hi_u32 v8, s0, v4
	v_mul_lo_u32 v10, s22, v4
	v_mul_lo_u32 v9, s0, v7
	v_add_nc_u32_e32 v8, v8, v9
	v_mul_lo_u32 v9, s0, v4
	v_add_nc_u32_e32 v8, v8, v10
	v_mul_hi_u32 v10, v4, v9
	v_mul_lo_u32 v11, v4, v8
	v_mul_hi_u32 v12, v4, v8
	v_mul_hi_u32 v13, v7, v9
	v_mul_lo_u32 v9, v7, v9
	v_mul_hi_u32 v14, v7, v8
	v_mul_lo_u32 v8, v7, v8
	v_add_co_u32 v10, vcc_lo, v10, v11
	v_add_co_ci_u32_e32 v11, vcc_lo, 0, v12, vcc_lo
	v_add_co_u32 v9, vcc_lo, v10, v9
	v_add_co_ci_u32_e32 v9, vcc_lo, v11, v13, vcc_lo
	v_add_co_ci_u32_e32 v10, vcc_lo, 0, v14, vcc_lo
	v_add_co_u32 v8, vcc_lo, v9, v8
	v_add_co_ci_u32_e32 v9, vcc_lo, 0, v10, vcc_lo
	v_add_co_u32 v4, vcc_lo, v4, v8
	v_add_co_ci_u32_e32 v11, vcc_lo, v7, v9, vcc_lo
	v_mul_hi_u32 v13, v5, v4
	v_mad_u64_u32 v[9:10], null, v6, v4, 0
	v_mad_u64_u32 v[7:8], null, v5, v11, 0
	;; [unrolled: 1-line block ×3, first 2 shown]
	v_add_co_u32 v4, vcc_lo, v13, v7
	v_add_co_ci_u32_e32 v7, vcc_lo, 0, v8, vcc_lo
	v_add_co_u32 v4, vcc_lo, v4, v9
	v_add_co_ci_u32_e32 v4, vcc_lo, v7, v10, vcc_lo
	v_add_co_ci_u32_e32 v7, vcc_lo, 0, v12, vcc_lo
	v_add_co_u32 v4, vcc_lo, v4, v11
	v_add_co_ci_u32_e32 v9, vcc_lo, 0, v7, vcc_lo
	v_mul_lo_u32 v10, s21, v4
	v_mad_u64_u32 v[7:8], null, s20, v4, 0
	v_mul_lo_u32 v11, s20, v9
	v_sub_co_u32 v7, vcc_lo, v5, v7
	v_add3_u32 v8, v8, v11, v10
	v_sub_nc_u32_e32 v10, v6, v8
	v_subrev_co_ci_u32_e64 v10, s0, s21, v10, vcc_lo
	v_add_co_u32 v11, s0, v4, 2
	v_add_co_ci_u32_e64 v12, s0, 0, v9, s0
	v_sub_co_u32 v13, s0, v7, s20
	v_sub_co_ci_u32_e32 v8, vcc_lo, v6, v8, vcc_lo
	v_subrev_co_ci_u32_e64 v10, s0, 0, v10, s0
	v_cmp_le_u32_e32 vcc_lo, s20, v13
	v_cmp_eq_u32_e64 s0, s21, v8
	v_cndmask_b32_e64 v13, 0, -1, vcc_lo
	v_cmp_le_u32_e32 vcc_lo, s21, v10
	v_cndmask_b32_e64 v14, 0, -1, vcc_lo
	v_cmp_le_u32_e32 vcc_lo, s20, v7
	;; [unrolled: 2-line block ×3, first 2 shown]
	v_cndmask_b32_e64 v15, 0, -1, vcc_lo
	v_cmp_eq_u32_e32 vcc_lo, s21, v10
	v_cndmask_b32_e64 v7, v15, v7, s0
	v_cndmask_b32_e32 v10, v14, v13, vcc_lo
	v_add_co_u32 v13, vcc_lo, v4, 1
	v_add_co_ci_u32_e32 v14, vcc_lo, 0, v9, vcc_lo
	v_cmp_ne_u32_e32 vcc_lo, 0, v10
	v_cndmask_b32_e32 v8, v14, v12, vcc_lo
	v_cndmask_b32_e32 v10, v13, v11, vcc_lo
	v_cmp_ne_u32_e32 vcc_lo, 0, v7
	v_cndmask_b32_e32 v8, v9, v8, vcc_lo
	v_cndmask_b32_e32 v7, v4, v10, vcc_lo
.LBB0_4:                                ;   in Loop: Header=BB0_2 Depth=1
	s_andn2_saveexec_b32 s0, s1
	s_cbranch_execz .LBB0_6
; %bb.5:                                ;   in Loop: Header=BB0_2 Depth=1
	v_cvt_f32_u32_e32 v4, s20
	s_sub_i32 s1, 0, s20
	v_rcp_iflag_f32_e32 v4, v4
	v_mul_f32_e32 v4, 0x4f7ffffe, v4
	v_cvt_u32_f32_e32 v4, v4
	v_mul_lo_u32 v7, s1, v4
	v_mul_hi_u32 v7, v4, v7
	v_add_nc_u32_e32 v4, v4, v7
	v_mul_hi_u32 v4, v5, v4
	v_mul_lo_u32 v7, v4, s20
	v_add_nc_u32_e32 v8, 1, v4
	v_sub_nc_u32_e32 v7, v5, v7
	v_subrev_nc_u32_e32 v9, s20, v7
	v_cmp_le_u32_e32 vcc_lo, s20, v7
	v_cndmask_b32_e32 v7, v7, v9, vcc_lo
	v_cndmask_b32_e32 v4, v4, v8, vcc_lo
	v_cmp_le_u32_e32 vcc_lo, s20, v7
	v_add_nc_u32_e32 v8, 1, v4
	v_cndmask_b32_e32 v7, v4, v8, vcc_lo
	v_mov_b32_e32 v8, v3
.LBB0_6:                                ;   in Loop: Header=BB0_2 Depth=1
	s_or_b32 exec_lo, exec_lo, s0
	s_load_dwordx2 s[0:1], s[6:7], 0x0
	v_mul_lo_u32 v4, v8, s20
	v_mul_lo_u32 v11, v7, s21
	v_mad_u64_u32 v[9:10], null, v7, s20, 0
	s_add_u32 s18, s18, 1
	s_addc_u32 s19, s19, 0
	s_add_u32 s6, s6, 8
	s_addc_u32 s7, s7, 0
	;; [unrolled: 2-line block ×3, first 2 shown]
	v_add3_u32 v4, v10, v11, v4
	v_sub_co_u32 v5, vcc_lo, v5, v9
	v_sub_co_ci_u32_e32 v4, vcc_lo, v6, v4, vcc_lo
	s_waitcnt lgkmcnt(0)
	v_mul_lo_u32 v6, s1, v5
	v_mul_lo_u32 v4, s0, v4
	v_mad_u64_u32 v[1:2], null, s0, v5, v[1:2]
	v_cmp_ge_u64_e64 s0, s[18:19], s[10:11]
	s_and_b32 vcc_lo, exec_lo, s0
	v_add3_u32 v2, v6, v2, v4
	s_cbranch_vccnz .LBB0_9
; %bb.7:                                ;   in Loop: Header=BB0_2 Depth=1
	v_mov_b32_e32 v5, v7
	v_mov_b32_e32 v6, v8
	s_branch .LBB0_2
.LBB0_8:
	v_mov_b32_e32 v8, v6
	v_mov_b32_e32 v7, v5
.LBB0_9:
	s_lshl_b64 s[0:1], s[10:11], 3
	v_mul_hi_u32 v3, 0x2aaaaab, v0
	s_add_u32 s0, s14, s0
	s_addc_u32 s1, s15, s1
	s_load_dwordx2 s[4:5], s[4:5], 0x20
	s_load_dwordx2 s[0:1], s[0:1], 0x0
                                        ; implicit-def: $vgpr38
                                        ; implicit-def: $vgpr36
                                        ; implicit-def: $vgpr44
                                        ; implicit-def: $vgpr59
                                        ; implicit-def: $vgpr68
                                        ; implicit-def: $vgpr65
                                        ; implicit-def: $vgpr40
                                        ; implicit-def: $vgpr42
                                        ; implicit-def: $vgpr43
                                        ; implicit-def: $vgpr45
                                        ; implicit-def: $vgpr46
                                        ; implicit-def: $vgpr48
                                        ; implicit-def: $vgpr50
                                        ; implicit-def: $vgpr63_vgpr64
                                        ; implicit-def: $vgpr61_vgpr62
                                        ; implicit-def: $vgpr57_vgpr58
                                        ; implicit-def: $vgpr55_vgpr56
                                        ; implicit-def: $vgpr53_vgpr54
                                        ; implicit-def: $vgpr51_vgpr52
	v_mul_u32_u24_e32 v3, 0x60, v3
	v_sub_nc_u32_e32 v32, v0, v3
	v_add_nc_u32_e32 v28, 0x60, v32
	v_add_nc_u32_e32 v26, 0xc0, v32
	;; [unrolled: 1-line block ×5, first 2 shown]
	s_waitcnt lgkmcnt(0)
	v_cmp_gt_u64_e32 vcc_lo, s[4:5], v[7:8]
	v_mul_lo_u32 v0, s0, v8
	v_mul_lo_u32 v4, s1, v7
	v_mad_u64_u32 v[2:3], null, s0, v7, v[1:2]
	v_cmp_le_u64_e64 s0, s[4:5], v[7:8]
	v_or_b32_e32 v24, 0x180, v32
	v_add_nc_u32_e32 v20, 0x240, v32
	v_add_nc_u32_e32 v77, 0x2a0, v32
	v_or_b32_e32 v76, 0x300, v32
	v_add_nc_u32_e32 v75, 0x360, v32
	v_add_nc_u32_e32 v73, 0x420, v32
	v_or_b32_e32 v72, 0x480, v32
	v_add_nc_u32_e32 v71, 0x4e0, v32
	v_add3_u32 v3, v4, v3, v0
	v_add_nc_u32_e32 v70, 0x540, v32
                                        ; implicit-def: $vgpr0
	s_and_saveexec_b32 s1, s0
	s_xor_b32 s0, exec_lo, s1
	s_cbranch_execz .LBB0_11
; %bb.10:
	v_mov_b32_e32 v33, 0
	v_add_nc_u32_e32 v59, 0x120, v32
	v_or_b32_e32 v68, 0x180, v32
	v_add_nc_u32_e32 v65, 0x240, v32
	v_add_nc_u32_e32 v38, 0x60, v32
	v_mov_b32_e32 v39, v33
	v_mov_b32_e32 v37, v33
	;; [unrolled: 1-line block ×3, first 2 shown]
	v_add_nc_u32_e32 v36, 0xc0, v32
	v_add_nc_u32_e32 v0, 0x1e0, v32
	v_mov_b32_e32 v60, v33
	v_mov_b32_e32 v69, v33
	;; [unrolled: 1-line block ×9, first 2 shown]
	v_add_nc_u32_e32 v44, 0x3c0, v32
	v_add_nc_u32_e32 v40, 0x2a0, v32
	v_or_b32_e32 v42, 0x300, v32
	v_add_nc_u32_e32 v43, 0x360, v32
	v_add_nc_u32_e32 v45, 0x420, v32
	v_or_b32_e32 v46, 0x480, v32
	v_add_nc_u32_e32 v48, 0x4e0, v32
	v_add_nc_u32_e32 v50, 0x540, v32
	v_mov_b32_e32 v63, v38
	v_mov_b32_e32 v61, v36
	;; [unrolled: 1-line block ×6, first 2 shown]
.LBB0_11:
	s_or_saveexec_b32 s1, s0
	v_lshlrev_b64 v[34:35], 2, v[2:3]
	v_add_nc_u32_e32 v83, 0x5a0, v32
	v_add_nc_u32_e32 v82, 0x6c0, v32
	;; [unrolled: 1-line block ×3, first 2 shown]
	v_or_b32_e32 v60, 0x900, v32
	v_add_nc_u32_e32 v37, 0xa20, v32
	v_or_b32_e32 v84, 0x600, v32
	v_add_nc_u32_e32 v81, 0x720, v32
	v_add_nc_u32_e32 v78, 0x840, v32
	;; [unrolled: 1-line block ×3, first 2 shown]
	v_or_b32_e32 v80, 0x780, v32
	v_add_nc_u32_e32 v69, 0x8a0, v32
	v_add_nc_u32_e32 v39, 0x9c0, v32
                                        ; implicit-def: $vgpr6
                                        ; implicit-def: $vgpr1
                                        ; implicit-def: $vgpr96
                                        ; implicit-def: $vgpr9
                                        ; implicit-def: $vgpr97
                                        ; implicit-def: $vgpr88
                                        ; implicit-def: $vgpr98
                                        ; implicit-def: $vgpr90
                                        ; implicit-def: $vgpr99
                                        ; implicit-def: $vgpr95
                                        ; implicit-def: $vgpr7
                                        ; implicit-def: $vgpr2
                                        ; implicit-def: $vgpr110
                                        ; implicit-def: $vgpr105
                                        ; implicit-def: $vgpr112
                                        ; implicit-def: $vgpr103
                                        ; implicit-def: $vgpr109
                                        ; implicit-def: $vgpr94
                                        ; implicit-def: $vgpr111
                                        ; implicit-def: $vgpr106
                                        ; implicit-def: $vgpr8
                                        ; implicit-def: $vgpr4
                                        ; implicit-def: $vgpr91
                                        ; implicit-def: $vgpr17
                                        ; implicit-def: $vgpr92
                                        ; implicit-def: $vgpr41
                                        ; implicit-def: $vgpr49
                                        ; implicit-def: $vgpr47
                                        ; implicit-def: $vgpr66
                                        ; implicit-def: $vgpr67
                                        ; implicit-def: $vgpr14
                                        ; implicit-def: $vgpr12
                                        ; implicit-def: $vgpr13
                                        ; implicit-def: $vgpr11
                                        ; implicit-def: $vgpr10
                                        ; implicit-def: $vgpr86
                                        ; implicit-def: $vgpr89
                                        ; implicit-def: $vgpr108
                                        ; implicit-def: $vgpr93
                                        ; implicit-def: $vgpr5
                                        ; implicit-def: $vgpr18
                                        ; implicit-def: $vgpr19
                                        ; implicit-def: $vgpr16
                                        ; implicit-def: $vgpr87
                                        ; implicit-def: $vgpr3
	s_xor_b32 exec_lo, exec_lo, s1
	s_cbranch_execz .LBB0_13
; %bb.12:
	v_mad_u64_u32 v[1:2], null, s2, v32, 0
	v_mad_u64_u32 v[3:4], null, s2, v30, 0
	;; [unrolled: 1-line block ×4, first 2 shown]
	v_mov_b32_e32 v0, v2
	v_mad_u64_u32 v[11:12], null, s2, v72, 0
	v_mad_u64_u32 v[40:41], null, s2, v60, 0
	v_mad_u64_u32 v[5:6], null, s3, v32, v[0:1]
	v_mov_b32_e32 v0, v4
	v_mov_b32_e32 v4, v8
	v_mad_u64_u32 v[42:43], null, s2, v37, 0
	v_mad_u64_u32 v[48:49], null, s2, v24, 0
	;; [unrolled: 1-line block ×3, first 2 shown]
	v_mov_b32_e32 v2, v5
	v_mov_b32_e32 v5, v10
	v_add_co_u32 v0, s0, s12, v34
	v_add_co_ci_u32_e64 v6, s0, s13, v35, s0
	v_mad_u64_u32 v[14:15], null, s3, v20, v[4:5]
	v_lshlrev_b64 v[1:2], 2, v[1:2]
	v_mov_b32_e32 v4, v13
	v_mad_u64_u32 v[15:16], null, s3, v75, v[5:6]
	v_or_b32_e32 v21, 0xa80, v32
	v_add_nc_u32_e32 v25, 0xae0, v32
	v_add_co_u32 v1, s0, v0, v1
	v_lshlrev_b64 v[3:4], 2, v[3:4]
	v_mov_b32_e32 v8, v14
	v_mad_u64_u32 v[13:14], null, s2, v83, 0
	v_add_co_ci_u32_e64 v2, s0, v6, v2, s0
	v_mov_b32_e32 v10, v15
	v_mad_u64_u32 v[15:16], null, s2, v82, 0
	global_load_dword v1, v[1:2], off
	v_add_co_u32 v2, s0, v0, v3
	v_add_co_ci_u32_e64 v3, s0, v6, v4, s0
	v_lshlrev_b64 v[4:5], 2, v[7:8]
	v_mad_u64_u32 v[7:8], null, s3, v72, v[12:13]
	v_lshlrev_b64 v[9:10], 2, v[9:10]
	v_mov_b32_e32 v8, v14
	v_mov_b32_e32 v33, 0
	v_add_co_u32 v4, s0, v0, v4
	v_add_co_ci_u32_e64 v5, s0, v6, v5, s0
	v_mad_u64_u32 v[17:18], null, s3, v83, v[8:9]
	v_mov_b32_e32 v12, v7
	v_mov_b32_e32 v7, v16
	v_add_co_u32 v8, s0, v0, v9
	v_add_co_ci_u32_e64 v9, s0, v6, v10, s0
	v_mov_b32_e32 v14, v17
	v_mad_u64_u32 v[16:17], null, s3, v82, v[7:8]
	v_mad_u64_u32 v[17:18], null, s2, v79, 0
	v_lshlrev_b64 v[10:11], 2, v[11:12]
	v_lshlrev_b64 v[12:13], 2, v[13:14]
	v_mov_b32_e32 v14, v41
	v_mov_b32_e32 v31, v33
	;; [unrolled: 1-line block ×5, first 2 shown]
	v_mad_u64_u32 v[44:45], null, s3, v60, v[14:15]
	v_add_co_u32 v10, s0, v0, v10
	v_mad_u64_u32 v[18:19], null, s3, v79, v[7:8]
	v_lshlrev_b64 v[14:15], 2, v[15:16]
	v_add_co_ci_u32_e64 v11, s0, v6, v11, s0
	v_add_co_u32 v12, s0, v0, v12
	v_mov_b32_e32 v41, v44
	v_lshlrev_b64 v[16:17], 2, v[17:18]
	v_add_co_ci_u32_e64 v13, s0, v6, v13, s0
	v_add_co_u32 v14, s0, v0, v14
	v_add_co_ci_u32_e64 v15, s0, v6, v15, s0
	v_lshlrev_b64 v[18:19], 2, v[40:41]
	v_add_co_u32 v16, s0, v0, v16
	v_add_co_ci_u32_e64 v17, s0, v6, v17, s0
	v_mov_b32_e32 v7, v43
	v_add_co_u32 v46, s0, v0, v18
	v_add_co_ci_u32_e64 v47, s0, v6, v19, s0
	s_clause 0x6
	global_load_dword v16, v[16:17], off
	global_load_dword v90, v[14:15], off
	global_load_dword v18, v[12:13], off
	global_load_dword v88, v[10:11], off
	global_load_dword v19, v[8:9], off
	global_load_dword v9, v[4:5], off
	global_load_dword v3, v[2:3], off
	v_mad_u64_u32 v[43:44], null, s3, v37, v[7:8]
	v_mad_u64_u32 v[44:45], null, s2, v28, 0
	;; [unrolled: 1-line block ×4, first 2 shown]
	v_lshlrev_b64 v[40:41], 2, v[42:43]
	v_mad_u64_u32 v[14:15], null, s2, v84, 0
	v_mov_b32_e32 v7, v45
	v_add_nc_u32_e32 v17, 0x960, v32
	v_mov_b32_e32 v58, v31
	v_add_co_u32 v40, s0, v0, v40
	v_mad_u64_u32 v[42:43], null, s3, v28, v[7:8]
	v_mov_b32_e32 v7, v49
	v_add_co_ci_u32_e64 v41, s0, v6, v41, s0
	v_mov_b32_e32 v62, v27
	v_mov_b32_e32 v64, v29
	v_mad_u64_u32 v[7:8], null, s3, v24, v[7:8]
	v_mov_b32_e32 v45, v42
	v_mad_u64_u32 v[42:43], null, s2, v77, 0
	v_mov_b32_e32 v57, v30
	v_mov_b32_e32 v61, v26
	v_lshlrev_b64 v[4:5], 2, v[44:45]
	v_mov_b32_e32 v49, v7
	v_mov_b32_e32 v63, v28
	;; [unrolled: 1-line block ×5, first 2 shown]
	v_add_co_u32 v4, s0, v0, v4
	v_add_co_ci_u32_e64 v5, s0, v6, v5, s0
	v_mov_b32_e32 v59, v30
	v_mov_b32_e32 v36, v26
	;; [unrolled: 1-line block ×3, first 2 shown]
	s_waitcnt vmcnt(5)
	v_lshrrev_b32_e32 v98, 16, v90
	s_waitcnt vmcnt(3)
	v_lshrrev_b32_e32 v97, 16, v88
	;; [unrolled: 2-line block ×3, first 2 shown]
	s_waitcnt vmcnt(0)
	v_mad_u64_u32 v[7:8], null, s3, v77, v[2:3]
	v_mov_b32_e32 v8, v11
	s_clause 0x2
	global_load_dword v95, v[46:47], off
	global_load_dword v87, v[40:41], off
	global_load_dword v2, v[4:5], off
	v_lshlrev_b64 v[4:5], 2, v[48:49]
	v_mad_u64_u32 v[45:46], null, s2, v78, 0
	v_mad_u64_u32 v[47:48], null, s2, v17, 0
	v_mov_b32_e32 v43, v7
	v_mad_u64_u32 v[7:8], null, s3, v74, v[8:9]
	v_mov_b32_e32 v8, v13
	v_add_co_u32 v4, s0, v0, v4
	v_lshlrev_b64 v[40:41], 2, v[42:43]
	v_add_co_ci_u32_e64 v5, s0, v6, v5, s0
	v_mov_b32_e32 v11, v7
	v_mad_u64_u32 v[7:8], null, s3, v71, v[8:9]
	v_mov_b32_e32 v8, v15
	v_add_co_u32 v40, s0, v0, v40
	v_lshlrev_b64 v[10:11], 2, v[10:11]
	v_add_co_ci_u32_e64 v41, s0, v6, v41, s0
	v_mad_u64_u32 v[42:43], null, s3, v84, v[8:9]
	v_mad_u64_u32 v[43:44], null, s2, v81, 0
	v_mov_b32_e32 v13, v7
	v_add_co_u32 v7, s0, v0, v10
	v_add_co_ci_u32_e64 v8, s0, v6, v11, s0
	v_lshlrev_b64 v[10:11], 2, v[12:13]
	v_mov_b32_e32 v12, v44
	v_mov_b32_e32 v15, v42
	v_mad_u64_u32 v[49:50], null, s2, v21, 0
	v_mad_u64_u32 v[12:13], null, s3, v81, v[12:13]
	v_lshlrev_b64 v[14:15], 2, v[14:15]
	v_mov_b32_e32 v13, v46
	v_add_co_u32 v10, s0, v0, v10
	v_add_co_ci_u32_e64 v11, s0, v6, v11, s0
	v_mov_b32_e32 v44, v12
	v_mad_u64_u32 v[12:13], null, s3, v78, v[13:14]
	v_mov_b32_e32 v13, v48
	v_add_co_u32 v14, s0, v0, v14
	v_lshlrev_b64 v[42:43], 2, v[43:44]
	v_add_co_ci_u32_e64 v15, s0, v6, v15, s0
	v_mov_b32_e32 v46, v12
	v_mov_b32_e32 v12, v50
	v_mad_u64_u32 v[51:52], null, s3, v17, v[13:14]
	v_mad_u64_u32 v[52:53], null, s2, v26, 0
	;; [unrolled: 1-line block ×3, first 2 shown]
	v_add_co_u32 v42, s0, v0, v42
	v_add_co_ci_u32_e64 v43, s0, v6, v43, s0
	v_mov_b32_e32 v13, v53
	v_mov_b32_e32 v48, v51
	;; [unrolled: 1-line block ×3, first 2 shown]
	v_lshlrev_b64 v[44:45], 2, v[45:46]
	global_load_dword v94, v[42:43], off
	v_mad_u64_u32 v[12:13], null, s3, v26, v[13:14]
	v_lshlrev_b64 v[42:43], 2, v[47:48]
	v_mad_u64_u32 v[46:47], null, s2, v76, 0
	v_lshlrev_b64 v[48:49], 2, v[49:50]
	v_mad_u64_u32 v[50:51], null, s2, v22, 0
	v_mov_b32_e32 v53, v12
	v_add_co_u32 v44, s0, v0, v44
	v_mov_b32_e32 v12, v47
	v_add_co_ci_u32_e64 v45, s0, v6, v45, s0
	v_mov_b32_e32 v13, v51
	v_add_co_u32 v42, s0, v0, v42
	v_lshlrev_b64 v[52:53], 2, v[52:53]
	v_add_co_ci_u32_e64 v43, s0, v6, v43, s0
	v_mad_u64_u32 v[54:55], null, s3, v76, v[12:13]
	s_clause 0x4
	global_load_dword v86, v[14:15], off
	global_load_dword v103, v[10:11], off
	;; [unrolled: 1-line block ×5, first 2 shown]
	v_mad_u64_u32 v[7:8], null, s3, v22, v[13:14]
	v_mad_u64_u32 v[12:13], null, s2, v73, 0
	;; [unrolled: 1-line block ×3, first 2 shown]
	v_add_co_u32 v48, s0, v0, v48
	v_add_co_ci_u32_e64 v49, s0, v6, v49, s0
	v_add_co_u32 v10, s0, v0, v52
	v_add_co_ci_u32_e64 v11, s0, v6, v53, s0
	v_mad_u64_u32 v[40:41], null, s3, v73, v[13:14]
	s_clause 0x2
	global_load_dword v106, v[42:43], off
	global_load_dword v93, v[48:49], off
	;; [unrolled: 1-line block ×3, first 2 shown]
	v_mad_u64_u32 v[41:42], null, s3, v70, v[15:16]
	v_mov_b32_e32 v47, v54
	v_mov_b32_e32 v51, v7
	v_mad_u64_u32 v[42:43], null, s2, v80, 0
	v_mov_b32_e32 v13, v40
	v_lshlrev_b64 v[7:8], 2, v[46:47]
	v_mov_b32_e32 v15, v41
	v_lshlrev_b64 v[10:11], 2, v[50:51]
	v_mad_u64_u32 v[46:47], null, s2, v85, 0
	v_mov_b32_e32 v21, v43
	v_add_co_u32 v7, s0, v0, v7
	v_lshlrev_b64 v[14:15], 2, v[14:15]
	v_add_co_ci_u32_e64 v8, s0, v6, v8, s0
	v_add_co_u32 v10, s0, v0, v10
	v_add_co_ci_u32_e64 v11, s0, v6, v11, s0
	v_add_co_u32 v14, s0, v0, v14
	v_add_co_ci_u32_e64 v15, s0, v6, v15, s0
	v_mad_u64_u32 v[40:41], null, s3, v80, v[21:22]
	s_clause 0x1
	global_load_dword v17, v[7:8], off
	global_load_dword v41, v[14:15], off
	v_mad_u64_u32 v[7:8], null, s2, v39, 0
	v_mov_b32_e32 v21, v47
	v_lshlrev_b64 v[12:13], 2, v[12:13]
	v_mov_b32_e32 v43, v40
	v_mov_b32_e32 v40, v77
	v_mad_u64_u32 v[47:48], null, s3, v39, v[8:9]
	v_mad_u64_u32 v[48:49], null, s3, v85, v[21:22]
	;; [unrolled: 1-line block ×3, first 2 shown]
	v_lshlrev_b64 v[14:15], 2, v[42:43]
	v_mad_u64_u32 v[42:43], null, s2, v69, 0
	v_mov_b32_e32 v8, v47
	v_mov_b32_e32 v47, v48
	;; [unrolled: 1-line block ×3, first 2 shown]
	v_add_co_u32 v14, s0, v0, v14
	v_mov_b32_e32 v23, v43
	v_lshlrev_b64 v[7:8], 2, v[7:8]
	v_mad_u64_u32 v[50:51], null, s3, v25, v[21:22]
	v_lshlrev_b64 v[51:52], 2, v[46:47]
	v_mad_u64_u32 v[46:47], null, s3, v69, v[23:24]
	v_add_co_ci_u32_e64 v15, s0, v6, v15, s0
	v_add_co_u32 v7, s0, v0, v7
	v_add_co_ci_u32_e64 v8, s0, v6, v8, s0
	s_clause 0x1
	global_load_dword v47, v[14:15], off
	global_load_dword v67, v[7:8], off
	v_add_co_u32 v7, s0, v0, v12
	v_mov_b32_e32 v43, v46
	v_add_co_ci_u32_e64 v8, s0, v6, v13, s0
	v_lshlrev_b64 v[12:13], 2, v[49:50]
	v_add_co_u32 v14, s0, v0, v51
	v_lshlrev_b64 v[42:43], 2, v[42:43]
	v_add_co_ci_u32_e64 v15, s0, v6, v52, s0
	v_add_co_u32 v48, s0, v0, v12
	v_add_co_ci_u32_e64 v49, s0, v6, v13, s0
	v_add_co_u32 v42, s0, v0, v42
	v_add_co_ci_u32_e64 v43, s0, v6, v43, s0
	s_clause 0x5
	global_load_dword v12, v[7:8], off
	global_load_dword v10, v[10:11], off
	;; [unrolled: 1-line block ×6, first 2 shown]
	v_mov_b32_e32 v21, v33
	v_mov_b32_e32 v25, v33
	;; [unrolled: 1-line block ×3, first 2 shown]
	v_lshrrev_b32_e32 v6, 16, v1
	v_mov_b32_e32 v50, v70
	v_mov_b32_e32 v52, v21
	;; [unrolled: 1-line block ×14, first 2 shown]
	s_waitcnt vmcnt(21)
	v_lshrrev_b32_e32 v99, 16, v95
	s_waitcnt vmcnt(19)
	v_lshrrev_b32_e32 v7, 16, v2
	;; [unrolled: 2-line block ×11, first 2 shown]
.LBB0_13:
	s_or_b32 exec_lo, exec_lo, s1
	v_add_f16_e32 v15, v88, v90
	v_add_f16_e32 v21, v1, v9
	v_sub_f16_e32 v23, v96, v99
	v_add_f16_e32 v29, v9, v95
	v_sub_f16_e32 v25, v97, v98
	v_fma_f16 v107, -0.5, v15, v1
	v_add_f16_e32 v21, v21, v88
	v_sub_f16_e32 v27, v9, v88
	v_sub_f16_e32 v15, v95, v90
	v_fmac_f16_e32 v1, -0.5, v29
	v_fmamk_f16 v100, v23, 0x3b9c, v107
	v_add_f16_e32 v21, v21, v90
	v_fmac_f16_e32 v107, 0xbb9c, v23
	v_sub_f16_e32 v31, v88, v9
	v_add_f16_e32 v27, v27, v15
	v_fmac_f16_e32 v100, 0x38b4, v25
	v_sub_f16_e32 v29, v90, v95
	v_fmamk_f16 v15, v25, 0xbb9c, v1
	v_add_f16_e32 v113, v21, v95
	v_fmac_f16_e32 v107, 0xb8b4, v25
	v_fmac_f16_e32 v1, 0x3b9c, v25
	v_add_f16_e32 v21, v6, v96
	v_add_f16_e32 v25, v97, v98
	v_fmac_f16_e32 v15, 0x38b4, v23
	v_add_f16_e32 v29, v31, v29
	v_fmac_f16_e32 v1, 0xb8b4, v23
	v_add_f16_e32 v21, v21, v97
	v_fma_f16 v23, -0.5, v25, v6
	v_sub_f16_e32 v25, v9, v95
	v_fmac_f16_e32 v100, 0x34f2, v27
	v_fmac_f16_e32 v107, 0x34f2, v27
	;; [unrolled: 1-line block ×4, first 2 shown]
	v_add_f16_e32 v21, v21, v98
	v_fmamk_f16 v9, v25, 0xbb9c, v23
	v_add_f16_e32 v27, v96, v99
	v_sub_f16_e32 v29, v88, v90
	v_sub_f16_e32 v31, v96, v97
	;; [unrolled: 1-line block ×3, first 2 shown]
	v_fmac_f16_e32 v23, 0x3b9c, v25
	v_fmac_f16_e32 v6, -0.5, v27
	v_add_f16_e32 v90, v21, v99
	v_fmac_f16_e32 v9, 0xb8b4, v29
	v_add_f16_e32 v21, v31, v88
	v_fmac_f16_e32 v23, 0x38b4, v29
	v_sub_f16_e32 v27, v97, v96
	v_sub_f16_e32 v88, v98, v99
	v_pk_add_f16 v96, v87, v16 neg_lo:[0,1] neg_hi:[0,1]
	v_fmac_f16_e32 v9, 0x34f2, v21
	v_fmac_f16_e32 v23, 0x34f2, v21
	v_fmamk_f16 v31, v29, 0x3b9c, v6
	v_add_f16_e32 v21, v27, v88
	v_pk_add_f16 v88, v19, v18 neg_lo:[0,1] neg_hi:[0,1]
	v_add_f16_e32 v95, v3, v19
	v_fmac_f16_e32 v6, 0xbb9c, v29
	v_add_f16_e32 v97, v18, v16
	v_pk_add_f16 v27, v19, v87 neg_lo:[0,1] neg_hi:[0,1]
	v_pk_add_f16 v29, v18, v16 neg_lo:[0,1] neg_hi:[0,1]
	v_pk_add_f16 v88, v88, v96
	v_lshrrev_b32_e32 v96, 16, v3
	v_add_f16_sdwa v98, v18, v16 dst_sel:DWORD dst_unused:UNUSED_PAD src0_sel:WORD_1 src1_sel:WORD_1
	v_add_f16_e32 v95, v95, v18
	v_fma_f16 v97, -0.5, v97, v3
	v_lshrrev_b32_e32 v99, 16, v27
	v_bfi_b32 v88, 0xffff, v88, v29
	v_add_f16_sdwa v101, v96, v19 dst_sel:DWORD dst_unused:UNUSED_PAD src0_sel:DWORD src1_sel:WORD_1
	v_fmac_f16_e32 v96, -0.5, v98
	v_fmac_f16_e32 v31, 0xb8b4, v25
	v_fmac_f16_e32 v6, 0x38b4, v25
	v_add_f16_e32 v25, v95, v16
	v_fmamk_f16 v95, v99, 0x3b9c, v97
	v_pk_mul_f16 v88, 0x38b434f2, v88
	v_fmamk_f16 v98, v27, 0xbb9c, v96
	v_sub_f16_sdwa v102, v19, v18 dst_sel:DWORD dst_unused:UNUSED_PAD src0_sel:WORD_1 src1_sel:WORD_1
	v_sub_f16_sdwa v104, v87, v16 dst_sel:DWORD dst_unused:UNUSED_PAD src0_sel:WORD_1 src1_sel:WORD_1
	v_fmac_f16_e32 v97, 0xbb9c, v99
	v_add_f16_sdwa v95, v88, v95 dst_sel:DWORD dst_unused:UNUSED_PAD src0_sel:WORD_1 src1_sel:DWORD
	v_fmac_f16_e32 v98, 0xb8b4, v29
	v_fmac_f16_e32 v96, 0x3b9c, v27
	v_add_f16_e32 v99, v102, v104
	v_sub_f16_sdwa v97, v97, v88 dst_sel:DWORD dst_unused:UNUSED_PAD src0_sel:DWORD src1_sel:WORD_1
	v_add_f16_e32 v114, v88, v95
	v_add_f16_sdwa v95, v101, v18 dst_sel:DWORD dst_unused:UNUSED_PAD src0_sel:DWORD src1_sel:WORD_1
	v_fmac_f16_e32 v96, 0x38b4, v29
	v_fmac_f16_e32 v98, 0x34f2, v99
	v_add_f16_e32 v88, v88, v97
	v_add_f16_e32 v25, v25, v87
	v_add_f16_sdwa v95, v95, v16 dst_sel:DWORD dst_unused:UNUSED_PAD src0_sel:DWORD src1_sel:WORD_1
	v_fmac_f16_e32 v96, 0x34f2, v99
	v_mul_f16_e32 v99, 0x38b4, v98
	v_mul_f16_e32 v97, 0x3a79, v88
	v_pk_add_f16 v104, v19, v87
	v_pk_add_f16 v101, v18, v19 neg_lo:[0,1] neg_hi:[0,1]
	v_pk_add_f16 v102, v16, v87 neg_lo:[0,1] neg_hi:[0,1]
	v_fmac_f16_e32 v99, 0x3a79, v114
	v_fma_f16 v18, v96, 0x38b4, -v97
	v_add_f16_sdwa v19, v95, v87 dst_sel:DWORD dst_unused:UNUSED_PAD src0_sel:DWORD src1_sel:WORD_1
	v_mul_f16_e32 v16, 0x3a79, v96
	v_mul_f16_e32 v87, 0xb8b4, v114
	v_add_f16_e32 v115, v2, v105
	v_add_f16_e32 v96, v113, v25
	;; [unrolled: 1-line block ×4, first 2 shown]
	v_fma_f16 v114, v88, 0xb8b4, -v16
	v_add_f16_e32 v88, v90, v19
	v_add_f16_e32 v116, v103, v94
	v_fmac_f16_e32 v87, 0x3a79, v98
	v_sub_f16_e32 v98, v113, v25
	v_add_f16_e32 v25, v115, v103
	v_sub_f16_e32 v100, v100, v99
	v_sub_f16_e32 v99, v107, v18
	;; [unrolled: 1-line block ×3, first 2 shown]
	v_add_f16_e32 v90, v105, v106
	v_fma_f16 v113, -0.5, v116, v2
	v_sub_f16_e32 v115, v110, v111
	v_add_f16_e32 v25, v25, v94
	v_sub_f16_e32 v117, v112, v109
	v_sub_f16_e32 v107, v105, v103
	;; [unrolled: 1-line block ×3, first 2 shown]
	v_fmac_f16_e32 v2, -0.5, v90
	v_add_f16_e32 v16, v23, v114
	v_fmamk_f16 v116, v115, 0x3b9c, v113
	v_sub_f16_e32 v19, v23, v114
	v_add_f16_e32 v23, v25, v106
	v_add_f16_e32 v25, v107, v118
	v_fmac_f16_e32 v113, 0xbb9c, v115
	v_fmamk_f16 v107, v117, 0xbb9c, v2
	v_sub_f16_e32 v90, v103, v105
	v_sub_f16_e32 v114, v94, v106
	v_add_f16_e32 v118, v112, v109
	v_fmac_f16_e32 v2, 0x3b9c, v117
	v_fmac_f16_e32 v116, 0x38b4, v117
	;; [unrolled: 1-line block ×4, first 2 shown]
	v_add_f16_e32 v114, v90, v114
	v_add_f16_e32 v90, v7, v110
	v_fma_f16 v118, -0.5, v118, v7
	v_sub_f16_e32 v105, v105, v106
	v_fmac_f16_e32 v2, 0xb8b4, v115
	v_add_f16_e32 v115, v110, v111
	v_fmac_f16_e32 v116, 0x34f2, v25
	v_fmac_f16_e32 v113, 0x34f2, v25
	v_add_f16_e32 v25, v90, v112
	v_fmamk_f16 v90, v105, 0xbb9c, v118
	v_sub_f16_e32 v94, v103, v94
	v_sub_f16_e32 v103, v110, v112
	;; [unrolled: 1-line block ×3, first 2 shown]
	v_fmac_f16_e32 v118, 0x3b9c, v105
	v_fmac_f16_e32 v7, -0.5, v115
	v_add_f16_e32 v25, v25, v109
	v_fmac_f16_e32 v90, 0xb8b4, v94
	v_add_f16_e32 v103, v103, v106
	v_fmac_f16_e32 v118, 0x38b4, v94
	v_fmamk_f16 v106, v94, 0x3b9c, v7
	v_sub_f16_e32 v110, v112, v110
	v_sub_f16_e32 v109, v109, v111
	v_fmac_f16_e32 v7, 0xbb9c, v94
	v_fmac_f16_e32 v90, 0x34f2, v103
	v_add_f16_e32 v112, v5, v89
	v_fmac_f16_e32 v118, 0x34f2, v103
	v_fmac_f16_e32 v106, 0xb8b4, v105
	v_add_f16_e32 v103, v110, v109
	v_fmac_f16_e32 v7, 0x38b4, v105
	v_pk_add_f16 v105, v89, v86 neg_lo:[0,1] neg_hi:[0,1]
	s_waitcnt vmcnt(3)
	v_pk_add_f16 v109, v93, v108 neg_lo:[0,1] neg_hi:[0,1]
	v_fmac_f16_e32 v107, 0x34f2, v114
	v_fmac_f16_e32 v2, 0x34f2, v114
	v_add_f16_e32 v25, v25, v111
	v_add_f16_e32 v94, v112, v86
	;; [unrolled: 1-line block ×3, first 2 shown]
	v_pk_add_f16 v112, v89, v93 neg_lo:[0,1] neg_hi:[0,1]
	v_pk_add_f16 v114, v86, v108 neg_lo:[0,1] neg_hi:[0,1]
	v_pk_add_f16 v105, v105, v109
	v_lshrrev_b32_e32 v109, 16, v5
	v_add_f16_sdwa v111, v86, v108 dst_sel:DWORD dst_unused:UNUSED_PAD src0_sel:WORD_1 src1_sel:WORD_1
	v_fma_f16 v110, -0.5, v110, v5
	v_lshrrev_b32_e32 v115, 16, v112
	v_bfi_b32 v105, 0xffff, v105, v114
	v_add_f16_sdwa v117, v109, v89 dst_sel:DWORD dst_unused:UNUSED_PAD src0_sel:DWORD src1_sel:WORD_1
	v_fmac_f16_e32 v109, -0.5, v111
	v_sub_f16_sdwa v119, v89, v86 dst_sel:DWORD dst_unused:UNUSED_PAD src0_sel:WORD_1 src1_sel:WORD_1
	v_fmamk_f16 v111, v115, 0x3b9c, v110
	v_pk_mul_f16 v105, 0x38b434f2, v105
	v_fmac_f16_e32 v110, 0xbb9c, v115
	v_fmamk_f16 v115, v112, 0xbb9c, v109
	v_sub_f16_sdwa v120, v93, v108 dst_sel:DWORD dst_unused:UNUSED_PAD src0_sel:WORD_1 src1_sel:WORD_1
	v_fmac_f16_e32 v109, 0x3b9c, v112
	v_add_f16_sdwa v111, v105, v111 dst_sel:DWORD dst_unused:UNUSED_PAD src0_sel:WORD_1 src1_sel:DWORD
	v_sub_f16_sdwa v110, v110, v105 dst_sel:DWORD dst_unused:UNUSED_PAD src0_sel:DWORD src1_sel:WORD_1
	v_fmac_f16_e32 v115, 0xb8b4, v114
	v_add_f16_e32 v119, v119, v120
	v_fmac_f16_e32 v109, 0x38b4, v114
	v_add_f16_e32 v111, v105, v111
	v_add_f16_e32 v105, v105, v110
	v_add_f16_sdwa v110, v117, v86 dst_sel:DWORD dst_unused:UNUSED_PAD src0_sel:DWORD src1_sel:WORD_1
	v_fmac_f16_e32 v115, 0x34f2, v119
	v_add_f16_e32 v94, v94, v108
	v_pk_add_f16 v117, v89, v93
	v_pk_add_f16 v86, v86, v89 neg_lo:[0,1] neg_hi:[0,1]
	v_add_f16_sdwa v89, v110, v108 dst_sel:DWORD dst_unused:UNUSED_PAD src0_sel:DWORD src1_sel:WORD_1
	v_fmac_f16_e32 v109, 0x34f2, v119
	v_mul_f16_e32 v119, 0x38b4, v115
	v_add_f16_e32 v94, v94, v93
	v_mul_f16_e32 v110, 0x3a79, v105
	v_pk_add_f16 v108, v108, v93 neg_lo:[0,1] neg_hi:[0,1]
	v_add_f16_sdwa v89, v89, v93 dst_sel:DWORD dst_unused:UNUSED_PAD src0_sel:DWORD src1_sel:WORD_1
	v_mul_f16_e32 v93, 0x3a79, v109
	v_fmac_f16_e32 v119, 0x3a79, v111
	v_mul_f16_e32 v111, 0xb8b4, v111
	v_fma_f16 v109, v109, 0x38b4, -v110
	v_add_f16_e32 v121, v23, v94
	v_fma_f16 v105, v105, 0xb8b4, -v93
	v_add_f16_e32 v110, v25, v89
	v_fmac_f16_e32 v111, 0x3a79, v115
	v_add_f16_e32 v115, v41, v47
	v_add_f16_e32 v123, v113, v109
	;; [unrolled: 1-line block ×3, first 2 shown]
	v_sub_f16_e32 v94, v23, v94
	v_sub_f16_e32 v109, v113, v109
	;; [unrolled: 1-line block ×3, first 2 shown]
	v_fma_f16 v23, -0.5, v115, v4
	v_sub_f16_e32 v89, v17, v41
	v_sub_f16_e32 v115, v67, v47
	;; [unrolled: 1-line block ×3, first 2 shown]
	v_add_f16_e32 v105, v17, v67
	v_add_f16_e32 v122, v116, v119
	v_sub_f16_e32 v116, v116, v119
	v_sub_f16_e32 v25, v91, v66
	;; [unrolled: 1-line block ×3, first 2 shown]
	v_add_f16_e32 v89, v89, v115
	v_add_f16_e32 v115, v4, v17
	v_fmac_f16_e32 v4, -0.5, v105
	v_fmamk_f16 v118, v25, 0x3b9c, v23
	v_fmac_f16_e32 v23, 0xbb9c, v25
	v_sub_f16_e32 v105, v41, v17
	v_sub_f16_e32 v124, v47, v67
	v_fmamk_f16 v125, v119, 0xbb9c, v4
	v_fmac_f16_e32 v4, 0x3b9c, v119
	v_fmac_f16_e32 v118, 0x38b4, v119
	v_add_f16_e32 v115, v115, v41
	v_fmac_f16_e32 v23, 0xb8b4, v119
	v_add_f16_e32 v105, v105, v124
	v_fmac_f16_e32 v125, 0x38b4, v25
	v_fmac_f16_e32 v4, 0xb8b4, v25
	v_add_f16_e32 v115, v115, v47
	v_fmac_f16_e32 v118, 0x34f2, v89
	v_fmac_f16_e32 v23, 0x34f2, v89
	;; [unrolled: 1-line block ×4, first 2 shown]
	v_add_f16_e32 v89, v8, v91
	v_add_f16_e32 v105, v92, v49
	v_sub_f16_e32 v41, v41, v47
	v_add_f16_e32 v47, v91, v66
	v_add_f16_e32 v25, v115, v67
	v_sub_f16_e32 v17, v17, v67
	v_sub_f16_e32 v67, v91, v92
	v_add_f16_e32 v89, v89, v92
	v_fma_f16 v105, -0.5, v105, v8
	v_fmac_f16_e32 v8, -0.5, v47
	v_sub_f16_e32 v47, v92, v91
	s_waitcnt vmcnt(0)
	v_pk_add_f16 v91, v12, v14 neg_lo:[0,1] neg_hi:[0,1]
	v_pk_add_f16 v92, v11, v13 neg_lo:[0,1] neg_hi:[0,1]
	v_sub_f16_e32 v115, v66, v49
	v_add_f16_e32 v89, v89, v49
	v_fmamk_f16 v124, v17, 0xbb9c, v105
	v_fmac_f16_e32 v105, 0x3b9c, v17
	v_pk_add_f16 v91, v91, v92
	v_pk_add_f16 v92, v14, v13 neg_lo:[0,1] neg_hi:[0,1]
	v_add_f16_e32 v67, v67, v115
	v_add_f16_e32 v89, v89, v66
	v_fmac_f16_e32 v124, 0xb8b4, v41
	v_fmac_f16_e32 v105, 0x38b4, v41
	v_sub_f16_e32 v49, v49, v66
	v_fmamk_f16 v66, v41, 0x3b9c, v8
	v_add_f16_e32 v115, v14, v13
	v_pk_add_f16 v119, v12, v11 neg_lo:[0,1] neg_hi:[0,1]
	v_fmac_f16_e32 v8, 0xbb9c, v41
	v_bfi_b32 v91, 0xffff, v91, v92
	v_fmac_f16_e32 v124, 0x34f2, v67
	v_fma_f16 v41, -0.5, v115, v10
	v_lshrrev_b32_e32 v115, 16, v119
	v_fmac_f16_e32 v105, 0x34f2, v67
	v_fmac_f16_e32 v66, 0xb8b4, v17
	v_pk_mul_f16 v67, 0x38b434f2, v91
	v_fmac_f16_e32 v8, 0x38b4, v17
	v_lshrrev_b32_e32 v17, 16, v10
	v_add_f16_sdwa v91, v14, v13 dst_sel:DWORD dst_unused:UNUSED_PAD src0_sel:WORD_1 src1_sel:WORD_1
	v_add_f16_e32 v47, v47, v49
	v_fmamk_f16 v49, v115, 0x3b9c, v41
	v_fmac_f16_e32 v41, 0xbb9c, v115
	v_add_f16_e32 v115, v10, v12
	v_add_f16_sdwa v126, v17, v12 dst_sel:DWORD dst_unused:UNUSED_PAD src0_sel:DWORD src1_sel:WORD_1
	v_fmac_f16_e32 v17, -0.5, v91
	v_add_f16_sdwa v49, v67, v49 dst_sel:DWORD dst_unused:UNUSED_PAD src0_sel:WORD_1 src1_sel:DWORD
	v_sub_f16_sdwa v41, v41, v67 dst_sel:DWORD dst_unused:UNUSED_PAD src0_sel:DWORD src1_sel:WORD_1
	v_add_f16_e32 v91, v115, v14
	v_sub_f16_sdwa v115, v12, v14 dst_sel:DWORD dst_unused:UNUSED_PAD src0_sel:WORD_1 src1_sel:WORD_1
	v_sub_f16_sdwa v127, v11, v13 dst_sel:DWORD dst_unused:UNUSED_PAD src0_sel:WORD_1 src1_sel:WORD_1
	v_fmamk_f16 v128, v119, 0xbb9c, v17
	v_add_f16_e32 v49, v67, v49
	v_add_f16_e32 v41, v67, v41
	;; [unrolled: 1-line block ×3, first 2 shown]
	v_fmac_f16_e32 v17, 0x3b9c, v119
	v_add_f16_e32 v91, v115, v127
	v_fmac_f16_e32 v128, 0xb8b4, v92
	v_add_f16_sdwa v115, v126, v14 dst_sel:DWORD dst_unused:UNUSED_PAD src0_sel:DWORD src1_sel:WORD_1
	v_pk_add_f16 v14, v14, v12 neg_lo:[0,1] neg_hi:[0,1]
	v_fmac_f16_e32 v17, 0x38b4, v92
	v_pk_add_f16 v12, v12, v11
	v_fmac_f16_e32 v128, 0x34f2, v91
	v_add_f16_e32 v67, v67, v11
	v_add_f16_sdwa v115, v115, v13 dst_sel:DWORD dst_unused:UNUSED_PAD src0_sel:DWORD src1_sel:WORD_1
	v_fmac_f16_e32 v17, 0x34f2, v91
	v_pk_fma_f16 v10, v12, 0.5, v10 op_sel_hi:[1,0,1] neg_lo:[1,0,0] neg_hi:[1,0,0]
	v_mul_f16_e32 v91, 0x38b4, v128
	v_pk_mul_f16 v12, 0x3b9c, v92 op_sel_hi:[0,1]
	v_pk_add_f16 v13, v13, v11 neg_lo:[0,1] neg_hi:[0,1]
	v_mul_f16_e32 v126, 0xb8b4, v49
	v_add_f16_sdwa v11, v115, v11 dst_sel:DWORD dst_unused:UNUSED_PAD src0_sel:DWORD src1_sel:WORD_1
	v_fmac_f16_e32 v91, 0x3a79, v49
	v_add_f16_e32 v49, v25, v67
	v_sub_f16_e32 v67, v25, v67
	v_pk_add_f16 v25, v12, v10 op_sel:[1,0] op_sel_hi:[0,1]
	v_pk_mul_f16 v115, 0x38b4, v119 op_sel_hi:[0,1]
	v_pk_add_f16 v10, v10, v12 op_sel:[0,1] op_sel_hi:[1,0] neg_lo:[0,1] neg_hi:[0,1]
	v_mul_f16_e32 v127, 0x3a79, v41
	v_mul_f16_e32 v129, 0x3a79, v17
	v_pk_add_f16 v13, v14, v13
	v_pk_add_f16 v14, v25, v115 op_sel:[0,1] op_sel_hi:[1,0] neg_lo:[0,1] neg_hi:[0,1]
	v_pk_add_f16 v10, v115, v10 op_sel:[1,0] op_sel_hi:[0,1]
	v_fma_f16 v17, v17, 0x38b4, -v127
	v_fma_f16 v41, v41, 0xb8b4, -v129
	v_fmac_f16_e32 v126, 0x3a79, v128
	v_add_f16_e32 v127, v89, v11
	v_pk_fma_f16 v10, 0x34f2, v13, v10 op_sel_hi:[0,1,1]
	v_pk_fma_f16 v13, 0x34f2, v13, v14 op_sel_hi:[0,1,1]
	v_add_f16_e32 v12, v23, v17
	v_sub_f16_e32 v17, v23, v17
	v_add_f16_e32 v14, v105, v41
	v_sub_f16_e32 v128, v105, v41
	v_mul_f16_e32 v23, 0x34f2, v10
	v_lshrrev_b32_e32 v41, 16, v13
	v_sub_f16_e32 v11, v89, v11
	v_mul_f16_e32 v89, 0x34f2, v21
	v_mul_f16_e32 v21, 0x34f2, v47
	v_pack_b32_f16 v8, v8, v66
	v_fmac_f16_e32 v23, 0x3b9c, v41
	v_lshrrev_b32_e32 v41, 16, v10
	v_pk_mul_f16 v10, 0x34f23b9c, v10
	v_pk_fma_f16 v5, v117, 0.5, v5 op_sel_hi:[1,0,1] neg_lo:[1,0,0] neg_hi:[1,0,0]
	v_pk_mul_f16 v66, 0x3b9c, v114 op_sel_hi:[0,1]
	v_mul_f16_e32 v47, 0x34f2, v103
	v_pk_add_f16 v8, v21, v8 op_sel_hi:[0,1]
	v_mul_f16_e32 v21, 0x34f2, v13
	v_pk_fma_f16 v10, 0x34f2bb9c, v13, v10 op_sel:[0,0,1] op_sel_hi:[1,1,0] neg_lo:[0,0,1] neg_hi:[0,0,1]
	v_pk_add_f16 v13, v66, v5 op_sel:[1,0] op_sel_hi:[0,1]
	v_pk_add_f16 v5, v5, v66 op_sel:[0,1] op_sel_hi:[1,0] neg_lo:[0,1] neg_hi:[0,1]
	v_pk_mul_f16 v103, 0x38b4, v112 op_sel_hi:[0,1]
	v_pk_add_f16 v86, v86, v108
	v_fma_f16 v41, v41, 0x3b9c, -v21
	v_pack_b32_f16 v7, v7, v106
	v_pk_fma_f16 v3, v104, 0.5, v3 op_sel_hi:[1,0,1] neg_lo:[1,0,0] neg_hi:[1,0,0]
	v_pk_add_f16 v5, v103, v5 op_sel:[1,0] op_sel_hi:[0,1]
	v_pk_add_f16 v13, v13, v103 op_sel:[0,1] op_sel_hi:[1,0] neg_lo:[0,1] neg_hi:[0,1]
	v_add_f16_e32 v105, v4, v41
	v_sub_f16_e32 v4, v4, v41
	v_pk_mul_f16 v29, 0x3b9c, v29 op_sel_hi:[0,1]
	v_pk_fma_f16 v5, 0x34f2, v86, v5 op_sel_hi:[0,1,1]
	v_pk_fma_f16 v13, 0x34f2, v86, v13 op_sel_hi:[0,1,1]
	v_pk_add_f16 v7, v47, v7 op_sel_hi:[0,1]
	v_pk_mul_f16 v106, 0x38b4, v27 op_sel_hi:[0,1]
	v_pk_add_f16 v104, v29, v3 op_sel:[1,0] op_sel_hi:[0,1]
	v_mul_f16_e32 v41, 0x34f2, v5
	v_lshrrev_b32_e32 v86, 16, v13
	v_mul_f16_e32 v47, 0x34f2, v13
	v_pk_add_f16 v3, v3, v29 op_sel:[0,1] op_sel_hi:[1,0] neg_lo:[0,1] neg_hi:[0,1]
	v_pack_b32_f16 v6, v6, v31
	v_mul_u32_u24_e32 v21, 10, v32
	v_fmac_f16_e32 v41, 0x3b9c, v86
	v_lshrrev_b32_e32 v86, 16, v5
	v_pk_add_f16 v3, v106, v3 op_sel:[1,0] op_sel_hi:[0,1]
	v_pk_mul_f16 v5, 0x34f23b9c, v5
	v_pk_add_f16 v6, v89, v6 op_sel_hi:[0,1]
	v_mul_i32_i24_e32 v66, 10, v38
	v_fma_f16 v47, v86, 0x3b9c, -v47
	v_pk_add_f16 v86, v101, v102
	v_pk_add_f16 v101, v104, v106 op_sel:[0,1] op_sel_hi:[1,0] neg_lo:[0,1] neg_hi:[0,1]
	v_add_f16_e32 v102, v107, v41
	v_pk_fma_f16 v5, 0x34f2bb9c, v13, v5 op_sel:[0,0,1] op_sel_hi:[1,1,0] neg_lo:[0,0,1] neg_hi:[0,0,1]
	v_add_f16_e32 v104, v2, v47
	v_pk_fma_f16 v3, 0x34f2, v86, v3 op_sel_hi:[0,1,1]
	v_pk_fma_f16 v86, 0x34f2, v86, v101 op_sel_hi:[0,1,1]
	v_sub_f16_e32 v2, v2, v47
	v_sub_f16_e32 v13, v107, v41
	v_lshl_add_u32 v131, v21, 1, 0
	v_mul_f16_e32 v101, 0x34f2, v3
	v_lshrrev_b32_e32 v47, 16, v86
	v_mul_f16_e32 v31, 0x34f2, v86
	v_lshrrev_b32_e32 v106, 16, v3
	v_pk_mul_f16 v3, 0x34f23b9c, v3
	v_pack_b32_f16 v96, v96, v97
	v_fmac_f16_e32 v101, 0x3b9c, v47
	v_pack_b32_f16 v95, v95, v98
	v_fma_f16 v106, v106, 0x3b9c, -v31
	v_add_f16_e32 v92, v118, v91
	v_lshl_add_u32 v21, v66, 1, 0
	v_add_f16_e32 v89, v15, v101
	v_sub_f16_e32 v15, v15, v101
	v_add_f16_e32 v107, v1, v106
	v_sub_f16_e32 v1, v1, v106
	;; [unrolled: 2-line block ×3, first 2 shown]
	v_pack_b32_f16 v15, v100, v15
	v_pack_b32_f16 v89, v89, v107
	v_mul_i32_i24_e32 v23, 10, v36
	v_pack_b32_f16 v1, v1, v99
	v_sub_f16_e32 v91, v118, v91
	v_pack_b32_f16 v97, v102, v104
	v_pack_b32_f16 v98, v121, v122
	v_pk_fma_f16 v3, 0x34f2bb9c, v86, v3 op_sel:[0,0,1] op_sel_hi:[1,1,0] neg_lo:[0,0,1] neg_hi:[0,0,1]
	ds_write2_b32 v131, v96, v89 offset1:1
	ds_write2_b32 v131, v95, v15 offset0:2 offset1:3
	ds_write_b32 v131, v1 offset:16
	ds_write2_b32 v21, v98, v97 offset1:1
	v_pack_b32_f16 v1, v116, v13
	v_pack_b32_f16 v13, v123, v94
	;; [unrolled: 1-line block ×3, first 2 shown]
	v_lshl_add_u32 v23, v23, 1, 0
	v_pack_b32_f16 v15, v66, v105
	v_pack_b32_f16 v49, v49, v92
	;; [unrolled: 1-line block ×5, first 2 shown]
	ds_write2_b32 v21, v13, v1 offset0:2 offset1:3
	ds_write_b32 v21, v2 offset:16
	ds_write2_b32 v23, v49, v15 offset1:1
	ds_write2_b32 v23, v12, v66 offset0:2 offset1:3
	ds_write_b32 v23, v4 offset:16
	v_bfi_b32 v2, 0xffff, v9, v6
	v_bfi_b32 v4, 0xffff, v87, v3
	v_lshl_add_u32 v25, v0, 1, 0
	v_add_f16_e32 v0, v9, v87
	v_pk_add_f16 v122, v6, v3
	v_mad_i32_i24 v27, 0xffffffee, v32, v131
	v_pk_add_f16 v2, v2, v4 neg_lo:[0,1] neg_hi:[0,1]
	v_and_b32_e32 v4, 0xff, v32
	v_pack_b32_f16 v0, v88, v0
	v_alignbit_b32 v1, v122, v122, 16
	v_lshl_add_u32 v29, v44, 1, 0
	v_lshl_add_u32 v31, v59, 1, 0
	v_mul_lo_u16 v4, 0xcd, v4
	v_sub_f16_e32 v3, v6, v3
	v_add_f16_e32 v129, v90, v111
	v_mad_i32_i24 v41, 0xffffffee, v38, v21
	v_mad_i32_i24 v47, 0xffffffee, v36, v23
	v_lshl_add_u32 v86, v68, 1, 0
	s_waitcnt lgkmcnt(0)
	s_barrier
	buffer_gl0_inv
	ds_read_u16 v118, v25
	ds_read_u16 v116, v29
	;; [unrolled: 1-line block ×4, first 2 shown]
	ds_read_u16 v114, v27 offset:1152
	ds_read_u16 v109, v27 offset:1344
	;; [unrolled: 1-line block ×8, first 2 shown]
	ds_read_u16 v67, v47
	ds_read_u16 v89, v41
	;; [unrolled: 1-line block ×3, first 2 shown]
	ds_read_u16 v112, v27 offset:2304
	ds_read_u16 v117, v27 offset:2112
	;; [unrolled: 1-line block ×15, first 2 shown]
	s_waitcnt lgkmcnt(0)
	s_barrier
	buffer_gl0_inv
	ds_write2_b32 v131, v0, v1 offset1:1
	v_pk_add_f16 v1, v7, v5
	v_sub_f16_e32 v6, v7, v5
	v_pack_b32_f16 v9, v16, v18
	v_bfi_b32 v7, 0xffff, v90, v7
	v_bfi_b32 v5, 0xffff, v111, v5
	v_lshrrev_b16 v90, 11, v4
	v_pack_b32_f16 v3, v3, v19
	v_alignbit_b32 v1, v1, v1, 16
	v_pack_b32_f16 v12, v110, v129
	v_add_f16_e32 v130, v124, v126
	v_pk_add_f16 v125, v8, v10
	v_pk_add_f16 v5, v7, v5 neg_lo:[0,1] neg_hi:[0,1]
	v_pack_b32_f16 v4, v93, v113
	ds_write2_b32 v131, v9, v2 offset0:2 offset1:3
	ds_write_b32 v131, v3 offset:16
	ds_write2_b32 v21, v12, v1 offset1:1
	v_mul_lo_u16 v1, v90, 10
	v_pack_b32_f16 v2, v6, v120
	v_and_b32_e32 v88, 0xff, v38
	ds_write2_b32 v21, v4, v5 offset0:2 offset1:3
	v_pack_b32_f16 v5, v127, v130
	v_sub_nc_u16 v92, v32, v1
	v_alignbit_b32 v1, v125, v125, 16
	v_bfi_b32 v3, 0xffff, v124, v8
	v_bfi_b32 v4, 0xffff, v126, v10
	ds_write_b32 v21, v2 offset:16
	ds_write2_b32 v23, v5, v1 offset1:1
	v_mul_lo_u16 v1, 0xcd, v88
	v_mov_b32_e32 v87, 5
	v_pk_add_f16 v3, v3, v4 neg_lo:[0,1] neg_hi:[0,1]
	v_pack_b32_f16 v4, v14, v11
	v_sub_f16_e32 v0, v8, v10
	v_lshrrev_b16 v93, 11, v1
	v_mul_u32_u24_sdwa v6, v92, v87 dst_sel:DWORD dst_unused:UNUSED_PAD src0_sel:BYTE_0 src1_sel:DWORD
	v_mov_b32_e32 v12, 0xcccd
	ds_write2_b32 v23, v4, v3 offset0:2 offset1:3
	v_pack_b32_f16 v0, v0, v128
	v_mul_lo_u16 v4, v93, 10
	v_lshlrev_b32_e32 v126, 2, v6
	v_mul_u32_u24_sdwa v9, v59, v12 dst_sel:DWORD dst_unused:UNUSED_PAD src0_sel:WORD_0 src1_sel:DWORD
	v_cmp_gt_u32_e64 s0, 60, v32
	ds_write_b32 v23, v0 offset:16
	v_sub_nc_u16 v113, v38, v4
	v_mul_u32_u24_sdwa v4, v36, v12 dst_sel:DWORD dst_unused:UNUSED_PAD src0_sel:WORD_0 src1_sel:DWORD
	s_waitcnt lgkmcnt(0)
	s_barrier
	buffer_gl0_inv
	global_load_dwordx4 v[0:3], v126, s[8:9]
	v_lshrrev_b32_e32 v110, 19, v4
	v_mul_u32_u24_sdwa v5, v113, v87 dst_sel:DWORD dst_unused:UNUSED_PAD src0_sel:BYTE_0 src1_sel:DWORD
	v_lshrrev_b32_e32 v120, 19, v9
	v_mul_u32_u24_sdwa v12, v68, v12 dst_sel:DWORD dst_unused:UNUSED_PAD src0_sel:WORD_0 src1_sel:DWORD
	v_lshlrev_b64 v[53:54], 2, v[53:54]
	v_mul_lo_u16 v8, v110, 10
	v_lshlrev_b32_e32 v127, 2, v5
	v_mul_lo_u16 v13, v120, 10
	v_lshrrev_b32_e32 v124, 19, v12
	v_sub_nc_u16 v111, v36, v8
	global_load_dwordx4 v[4:7], v127, s[8:9]
	v_sub_nc_u16 v122, v59, v13
	v_mul_lo_u16 v16, v124, 10
	v_mul_u32_u24_sdwa v8, v111, v87 dst_sel:DWORD dst_unused:UNUSED_PAD src0_sel:WORD_0 src1_sel:DWORD
	v_mul_u32_u24_sdwa v13, v122, v87 dst_sel:DWORD dst_unused:UNUSED_PAD src0_sel:WORD_0 src1_sel:DWORD
	v_sub_nc_u16 v125, v68, v16
	v_lshlrev_b32_e32 v128, 2, v8
	v_lshlrev_b32_e32 v131, 2, v13
	v_mul_u32_u24_sdwa v16, v125, v87 dst_sel:DWORD dst_unused:UNUSED_PAD src0_sel:WORD_0 src1_sel:DWORD
	s_clause 0x1
	global_load_dwordx4 v[8:11], v128, s[8:9]
	global_load_dwordx4 v[12:15], v131, s[8:9]
	v_lshlrev_b32_e32 v132, 2, v16
	s_clause 0x5
	global_load_dwordx4 v[16:19], v132, s[8:9]
	global_load_dword v130, v126, s[8:9] offset:16
	global_load_dword v129, v127, s[8:9] offset:16
	;; [unrolled: 1-line block ×5, first 2 shown]
	ds_read_u16 v139, v25
	ds_read_u16 v138, v29
	ds_read_u16 v137, v27 offset:2880
	ds_read_u16 v136, v27 offset:3840
	;; [unrolled: 1-line block ×7, first 2 shown]
	ds_read_u16 v141, v31
	ds_read_u16 v140, v86
	;; [unrolled: 1-line block ×4, first 2 shown]
	ds_read_u16 v146, v27 offset:1152
	ds_read_u16 v148, v27 offset:2112
	;; [unrolled: 1-line block ×3, first 2 shown]
	s_waitcnt vmcnt(9) lgkmcnt(15)
	v_mul_f16_sdwa v144, v139, v0 dst_sel:DWORD dst_unused:UNUSED_PAD src0_sel:DWORD src1_sel:WORD_1
	v_mul_f16_sdwa v145, v118, v0 dst_sel:DWORD dst_unused:UNUSED_PAD src0_sel:DWORD src1_sel:WORD_1
	s_waitcnt lgkmcnt(14)
	v_mul_f16_sdwa v147, v138, v1 dst_sel:DWORD dst_unused:UNUSED_PAD src0_sel:DWORD src1_sel:WORD_1
	v_fma_f16 v118, v118, v0, -v144
	v_fmac_f16_e32 v145, v139, v0
	v_mul_f16_sdwa v0, v116, v1 dst_sel:DWORD dst_unused:UNUSED_PAD src0_sel:DWORD src1_sel:WORD_1
	s_waitcnt lgkmcnt(13)
	v_mul_f16_sdwa v139, v137, v2 dst_sel:DWORD dst_unused:UNUSED_PAD src0_sel:DWORD src1_sel:WORD_1
	v_fma_f16 v116, v116, v1, -v147
	v_mul_f16_sdwa v144, v123, v2 dst_sel:DWORD dst_unused:UNUSED_PAD src0_sel:DWORD src1_sel:WORD_1
	s_waitcnt lgkmcnt(12)
	v_mul_f16_sdwa v147, v136, v3 dst_sel:DWORD dst_unused:UNUSED_PAD src0_sel:DWORD src1_sel:WORD_1
	v_fmac_f16_e32 v0, v138, v1
	v_fma_f16 v1, v123, v2, -v139
	v_mul_f16_sdwa v123, v121, v3 dst_sel:DWORD dst_unused:UNUSED_PAD src0_sel:DWORD src1_sel:WORD_1
	v_fmac_f16_e32 v144, v137, v2
	v_fma_f16 v2, v121, v3, -v147
	ds_read_u16 v121, v27 offset:1344
	ds_read_u16 v137, v27 offset:1536
	;; [unrolled: 1-line block ×5, first 2 shown]
	ds_read_u16 v150, v27
	s_waitcnt vmcnt(8) lgkmcnt(8)
	v_mul_f16_sdwa v151, v146, v4 dst_sel:DWORD dst_unused:UNUSED_PAD src0_sel:DWORD src1_sel:WORD_1
	v_mul_f16_sdwa v152, v114, v4 dst_sel:DWORD dst_unused:UNUSED_PAD src0_sel:DWORD src1_sel:WORD_1
	v_fmac_f16_e32 v123, v136, v3
	s_waitcnt lgkmcnt(7)
	v_mul_f16_sdwa v3, v148, v5 dst_sel:DWORD dst_unused:UNUSED_PAD src0_sel:DWORD src1_sel:WORD_1
	v_mul_f16_sdwa v136, v117, v5 dst_sel:DWORD dst_unused:UNUSED_PAD src0_sel:DWORD src1_sel:WORD_1
	v_fma_f16 v151, v114, v4, -v151
	v_fmac_f16_e32 v152, v146, v4
	v_mul_f16_sdwa v4, v135, v6 dst_sel:DWORD dst_unused:UNUSED_PAD src0_sel:DWORD src1_sel:WORD_1
	v_fma_f16 v3, v117, v5, -v3
	v_mul_f16_sdwa v114, v119, v6 dst_sel:DWORD dst_unused:UNUSED_PAD src0_sel:DWORD src1_sel:WORD_1
	v_mul_f16_sdwa v117, v134, v7 dst_sel:DWORD dst_unused:UNUSED_PAD src0_sel:DWORD src1_sel:WORD_1
	v_fmac_f16_e32 v136, v148, v5
	v_fma_f16 v4, v119, v6, -v4
	v_mul_f16_sdwa v5, v115, v7 dst_sel:DWORD dst_unused:UNUSED_PAD src0_sel:DWORD src1_sel:WORD_1
	v_fmac_f16_e32 v114, v135, v6
	v_fma_f16 v6, v115, v7, -v117
	ds_read_u16 v115, v27 offset:4224
	s_waitcnt vmcnt(7) lgkmcnt(6)
	v_mul_f16_sdwa v117, v121, v8 dst_sel:DWORD dst_unused:UNUSED_PAD src0_sel:DWORD src1_sel:WORD_1
	v_mul_f16_sdwa v135, v109, v8 dst_sel:DWORD dst_unused:UNUSED_PAD src0_sel:DWORD src1_sel:WORD_1
	v_fmac_f16_e32 v5, v134, v7
	s_waitcnt lgkmcnt(4)
	v_mul_f16_sdwa v7, v138, v9 dst_sel:DWORD dst_unused:UNUSED_PAD src0_sel:DWORD src1_sel:WORD_1
	v_mul_f16_sdwa v134, v112, v9 dst_sel:DWORD dst_unused:UNUSED_PAD src0_sel:DWORD src1_sel:WORD_1
	v_fma_f16 v146, v109, v8, -v117
	v_mul_f16_sdwa v109, v133, v10 dst_sel:DWORD dst_unused:UNUSED_PAD src0_sel:DWORD src1_sel:WORD_1
	v_fmac_f16_e32 v135, v121, v8
	v_fma_f16 v7, v112, v9, -v7
	v_fmac_f16_e32 v134, v138, v9
	v_mul_f16_sdwa v8, v108, v10 dst_sel:DWORD dst_unused:UNUSED_PAD src0_sel:DWORD src1_sel:WORD_1
	v_fma_f16 v9, v108, v10, -v109
	ds_read_u16 v108, v27 offset:4416
	ds_read_u16 v109, v27 offset:4608
	;; [unrolled: 1-line block ×7, first 2 shown]
	v_mul_f16_sdwa v153, v107, v11 dst_sel:DWORD dst_unused:UNUSED_PAD src0_sel:DWORD src1_sel:WORD_1
	s_waitcnt vmcnt(6) lgkmcnt(10)
	v_mul_f16_sdwa v154, v139, v13 dst_sel:DWORD dst_unused:UNUSED_PAD src0_sel:DWORD src1_sel:WORD_1
	v_fmac_f16_e32 v8, v133, v10
	v_mul_f16_sdwa v10, v137, v12 dst_sel:DWORD dst_unused:UNUSED_PAD src0_sel:DWORD src1_sel:WORD_1
	v_mul_f16_sdwa v133, v103, v12 dst_sel:DWORD dst_unused:UNUSED_PAD src0_sel:DWORD src1_sel:WORD_1
	s_waitcnt vmcnt(0) lgkmcnt(0)
	v_mul_f16_sdwa v148, v115, v11 dst_sel:DWORD dst_unused:UNUSED_PAD src0_sel:DWORD src1_sel:WORD_1
	v_fmac_f16_e32 v153, v115, v11
	v_fma_f16 v10, v103, v12, -v10
	v_fmac_f16_e32 v133, v137, v12
	v_mul_f16_sdwa v12, v102, v13 dst_sel:DWORD dst_unused:UNUSED_PAD src0_sel:DWORD src1_sel:WORD_1
	v_fma_f16 v148, v107, v11, -v148
	v_fma_f16 v11, v102, v13, -v154
	v_mul_f16_sdwa v102, v132, v14 dst_sel:DWORD dst_unused:UNUSED_PAD src0_sel:DWORD src1_sel:WORD_1
	v_mul_f16_sdwa v103, v99, v14 dst_sel:DWORD dst_unused:UNUSED_PAD src0_sel:DWORD src1_sel:WORD_1
	;; [unrolled: 1-line block ×4, first 2 shown]
	v_fmac_f16_e32 v12, v139, v13
	v_fma_f16 v13, v99, v14, -v102
	v_fmac_f16_e32 v103, v132, v14
	v_fma_f16 v14, v100, v15, -v107
	v_mul_f16_sdwa v99, v147, v16 dst_sel:DWORD dst_unused:UNUSED_PAD src0_sel:DWORD src1_sel:WORD_1
	v_mul_f16_sdwa v132, v101, v16 dst_sel:DWORD dst_unused:UNUSED_PAD src0_sel:DWORD src1_sel:WORD_1
	;; [unrolled: 1-line block ×4, first 2 shown]
	v_fmac_f16_e32 v137, v108, v15
	v_fma_f16 v15, v101, v16, -v99
	v_fmac_f16_e32 v132, v147, v16
	v_fma_f16 v16, v105, v17, -v100
	v_fmac_f16_e32 v139, v149, v17
	v_mul_f16_sdwa v17, v131, v18 dst_sel:DWORD dst_unused:UNUSED_PAD src0_sel:DWORD src1_sel:WORD_1
	v_mul_f16_sdwa v99, v97, v18 dst_sel:DWORD dst_unused:UNUSED_PAD src0_sel:DWORD src1_sel:WORD_1
	;; [unrolled: 1-line block ×5, first 2 shown]
	v_fma_f16 v17, v97, v18, -v17
	v_fmac_f16_e32 v99, v131, v18
	v_fma_f16 v18, v106, v19, -v100
	v_fmac_f16_e32 v147, v109, v19
	v_mul_f16_sdwa v19, v104, v130 dst_sel:DWORD dst_unused:UNUSED_PAD src0_sel:DWORD src1_sel:WORD_1
	v_mul_f16_sdwa v97, v121, v129 dst_sel:DWORD dst_unused:UNUSED_PAD src0_sel:DWORD src1_sel:WORD_1
	v_fma_f16 v100, v104, v130, -v101
	v_mul_f16_sdwa v101, v112, v128 dst_sel:DWORD dst_unused:UNUSED_PAD src0_sel:DWORD src1_sel:WORD_1
	v_mul_f16_sdwa v131, v98, v129 dst_sel:DWORD dst_unused:UNUSED_PAD src0_sel:DWORD src1_sel:WORD_1
	v_fmac_f16_e32 v19, v138, v130
	v_fma_f16 v97, v98, v129, -v97
	v_mul_f16_sdwa v130, v96, v128 dst_sel:DWORD dst_unused:UNUSED_PAD src0_sel:DWORD src1_sel:WORD_1
	v_fma_f16 v96, v96, v128, -v101
	v_mul_f16_sdwa v98, v117, v127 dst_sel:DWORD dst_unused:UNUSED_PAD src0_sel:DWORD src1_sel:WORD_1
	v_mul_f16_sdwa v101, v119, v126 dst_sel:DWORD dst_unused:UNUSED_PAD src0_sel:DWORD src1_sel:WORD_1
	v_fmac_f16_e32 v131, v121, v129
	v_mul_f16_sdwa v121, v95, v127 dst_sel:DWORD dst_unused:UNUSED_PAD src0_sel:DWORD src1_sel:WORD_1
	v_fmac_f16_e32 v130, v112, v128
	v_mul_f16_sdwa v128, v94, v126 dst_sel:DWORD dst_unused:UNUSED_PAD src0_sel:DWORD src1_sel:WORD_1
	v_fma_f16 v95, v95, v127, -v98
	v_add_f16_e32 v98, v116, v2
	v_fma_f16 v94, v94, v126, -v101
	v_add_f16_e32 v101, v0, v123
	v_add_f16_e32 v102, v91, v116
	;; [unrolled: 1-line block ×3, first 2 shown]
	v_fmac_f16_e32 v91, -0.5, v98
	v_add_f16_e32 v98, v150, v0
	v_sub_f16_e32 v0, v0, v123
	v_fmac_f16_e32 v150, -0.5, v101
	v_add_f16_e32 v101, v102, v2
	v_add_f16_e32 v102, v1, v100
	v_sub_f16_e32 v2, v116, v2
	v_fmamk_f16 v104, v0, 0x3aee, v91
	v_fmac_f16_e32 v91, 0xbaee, v0
	v_add_f16_e32 v0, v118, v1
	v_fmac_f16_e32 v118, -0.5, v102
	v_add_f16_e32 v102, v145, v144
	v_fmac_f16_e32 v145, -0.5, v105
	v_sub_f16_e32 v105, v144, v19
	v_sub_f16_e32 v1, v1, v100
	v_fmamk_f16 v106, v2, 0xbaee, v150
	v_fmac_f16_e32 v150, 0x3aee, v2
	v_add_f16_e32 v0, v0, v100
	v_fmamk_f16 v107, v105, 0x3aee, v118
	v_fmamk_f16 v2, v1, 0xbaee, v145
	v_fmac_f16_e32 v118, 0xbaee, v105
	v_add_f16_e32 v98, v98, v123
	v_fmac_f16_e32 v145, 0x3aee, v1
	v_mul_f16_e32 v100, 0xbaee, v107
	v_add_f16_e32 v19, v102, v19
	v_mul_f16_e32 v105, -0.5, v118
	v_fmac_f16_e32 v121, v117, v127
	v_fmac_f16_e32 v128, v119, v126
	v_fmac_f16_e32 v100, 0.5, v2
	v_mul_f16_e32 v1, 0x3aee, v2
	v_fmac_f16_e32 v105, 0x3aee, v145
	v_add_f16_e32 v123, v98, v19
	v_sub_f16_e32 v19, v98, v19
	v_add_f16_e32 v126, v106, v100
	v_sub_f16_e32 v127, v106, v100
	v_add_f16_e32 v98, v4, v97
	v_add_f16_e32 v100, v114, v131
	v_fmac_f16_e32 v1, 0.5, v107
	v_add_f16_e32 v102, v91, v105
	v_sub_f16_e32 v91, v91, v105
	v_add_f16_e32 v105, v151, v4
	v_fmac_f16_e32 v151, -0.5, v98
	v_add_f16_e32 v138, v152, v114
	v_fmac_f16_e32 v152, -0.5, v100
	v_sub_f16_e32 v4, v4, v97
	v_sub_f16_e32 v98, v114, v131
	v_mul_f16_e32 v108, -0.5, v145
	v_add_f16_e32 v2, v101, v0
	v_sub_f16_e32 v0, v101, v0
	v_add_f16_e32 v101, v104, v1
	v_sub_f16_e32 v1, v104, v1
	v_add_f16_e32 v104, v3, v6
	v_fmamk_f16 v145, v4, 0xbaee, v152
	v_fmamk_f16 v149, v98, 0x3aee, v151
	v_fmac_f16_e32 v151, 0xbaee, v98
	v_add_f16_e32 v100, v89, v3
	v_fmac_f16_e32 v89, -0.5, v104
	v_sub_f16_e32 v98, v136, v5
	v_mul_f16_e32 v104, 0x3aee, v145
	v_fmac_f16_e32 v152, 0x3aee, v4
	v_mul_f16_e32 v4, -0.5, v151
	v_add_f16_e32 v97, v105, v97
	v_add_f16_e32 v100, v100, v6
	v_fmamk_f16 v105, v98, 0x3aee, v89
	v_fmac_f16_e32 v104, 0.5, v149
	v_fmac_f16_e32 v89, 0xbaee, v98
	v_fmac_f16_e32 v4, 0x3aee, v152
	;; [unrolled: 1-line block ×3, first 2 shown]
	v_add_f16_e32 v98, v100, v97
	v_sub_f16_e32 v97, v100, v97
	v_add_f16_e32 v100, v105, v104
	v_sub_f16_e32 v104, v105, v104
	;; [unrolled: 2-line block ×3, first 2 shown]
	v_add_f16_e32 v89, v8, v130
	v_add_f16_e32 v129, v150, v108
	v_sub_f16_e32 v144, v150, v108
	v_add_f16_e32 v107, v9, v96
	v_add_f16_e32 v108, v146, v9
	;; [unrolled: 1-line block ×3, first 2 shown]
	v_fmac_f16_e32 v135, -0.5, v89
	v_sub_f16_e32 v9, v9, v96
	v_add_f16_e32 v106, v7, v148
	v_fmac_f16_e32 v146, -0.5, v107
	v_sub_f16_e32 v8, v8, v130
	v_add_f16_e32 v89, v67, v7
	v_fmamk_f16 v154, v9, 0xbaee, v135
	v_fmac_f16_e32 v67, -0.5, v106
	v_sub_f16_e32 v106, v134, v153
	v_fmamk_f16 v155, v8, 0x3aee, v146
	v_fmac_f16_e32 v146, 0xbaee, v8
	v_add_f16_e32 v8, v108, v96
	v_mul_f16_e32 v96, 0x3aee, v154
	v_fmac_f16_e32 v135, 0x3aee, v9
	v_add_f16_e32 v9, v89, v148
	v_fmamk_f16 v107, v106, 0x3aee, v67
	v_fmac_f16_e32 v67, 0xbaee, v106
	v_fmac_f16_e32 v96, 0.5, v155
	v_add_f16_e32 v109, v103, v121
	v_add_f16_e32 v106, v9, v8
	v_sub_f16_e32 v8, v9, v8
	v_mul_f16_e32 v89, -0.5, v146
	v_add_f16_e32 v9, v107, v96
	v_sub_f16_e32 v96, v107, v96
	v_add_f16_e32 v107, v13, v95
	v_add_f16_e32 v114, v10, v13
	;; [unrolled: 1-line block ×3, first 2 shown]
	v_fmac_f16_e32 v133, -0.5, v109
	v_sub_f16_e32 v13, v13, v95
	v_fmac_f16_e32 v10, -0.5, v107
	v_sub_f16_e32 v103, v103, v121
	v_fmac_f16_e32 v89, 0x3aee, v135
	v_add_f16_e32 v112, v11, v14
	v_fmamk_f16 v157, v13, 0xbaee, v133
	v_fmac_f16_e32 v133, 0x3aee, v13
	v_fmamk_f16 v158, v103, 0x3aee, v10
	v_fmac_f16_e32 v10, 0xbaee, v103
	v_add_f16_e32 v108, v67, v89
	v_sub_f16_e32 v67, v67, v89
	v_add_f16_e32 v89, v49, v11
	v_fmac_f16_e32 v49, -0.5, v112
	v_sub_f16_e32 v103, v12, v137
	v_mul_f16_e32 v107, 0x3aee, v157
	v_mul_f16_e32 v13, -0.5, v10
	v_add_f16_e32 v112, v16, v18
	v_add_f16_e32 v95, v114, v95
	;; [unrolled: 1-line block ×3, first 2 shown]
	v_fmamk_f16 v109, v103, 0x3aee, v49
	v_fmac_f16_e32 v107, 0.5, v158
	v_fmac_f16_e32 v49, 0xbaee, v103
	v_fmac_f16_e32 v13, 0x3aee, v133
	v_add_f16_e32 v114, v66, v16
	v_fmac_f16_e32 v66, -0.5, v112
	v_add_f16_e32 v112, v99, v128
	v_sub_f16_e32 v116, v139, v147
	v_add_f16_e32 v103, v89, v95
	v_sub_f16_e32 v89, v89, v95
	;; [unrolled: 2-line block ×3, first 2 shown]
	v_add_f16_e32 v109, v49, v13
	v_add_f16_e32 v159, v132, v99
	v_fmac_f16_e32 v132, -0.5, v112
	v_sub_f16_e32 v13, v49, v13
	v_fmamk_f16 v112, v116, 0x3aee, v66
	v_fmac_f16_e32 v66, 0xbaee, v116
	v_mov_b32_e32 v116, 0x78
	v_mov_b32_e32 v49, 1
	v_add_f16_e32 v115, v17, v94
	s_barrier
	buffer_gl0_inv
	v_mul_u32_u24_sdwa v90, v90, v116 dst_sel:DWORD dst_unused:UNUSED_PAD src0_sel:WORD_0 src1_sel:DWORD
	v_lshlrev_b32_sdwa v92, v49, v92 dst_sel:DWORD dst_unused:UNUSED_PAD src0_sel:DWORD src1_sel:BYTE_0
	v_add_f16_e32 v117, v15, v17
	v_fmac_f16_e32 v15, -0.5, v115
	v_sub_f16_e32 v99, v99, v128
	v_sub_f16_e32 v17, v17, v94
	v_add3_u32 v162, 0, v90, v92
	v_mul_u32_u24_sdwa v90, v93, v116 dst_sel:DWORD dst_unused:UNUSED_PAD src0_sel:WORD_0 src1_sel:DWORD
	v_lshlrev_b32_sdwa v92, v49, v113 dst_sel:DWORD dst_unused:UNUSED_PAD src0_sel:DWORD src1_sel:BYTE_0
	ds_write_b16 v162, v2
	ds_write_b16 v162, v101 offset:20
	ds_write_b16 v162, v102 offset:40
	;; [unrolled: 1-line block ×3, first 2 shown]
	v_add3_u32 v2, 0, v90, v92
	v_mul_u32_u24_e32 v0, 0x78, v110
	v_lshlrev_b32_sdwa v90, v49, v111 dst_sel:DWORD dst_unused:UNUSED_PAD src0_sel:DWORD src1_sel:WORD_0
	v_fmamk_f16 v160, v99, 0x3aee, v15
	v_fmamk_f16 v161, v17, 0xbaee, v132
	v_fmac_f16_e32 v15, 0xbaee, v99
	ds_write_b16 v162, v1 offset:80
	ds_write_b16 v162, v91 offset:100
	ds_write_b16 v2, v98
	ds_write_b16 v2, v100 offset:20
	v_add3_u32 v0, 0, v0, v90
	ds_write_b16 v2, v105 offset:40
	ds_write_b16 v2, v97 offset:60
	;; [unrolled: 1-line block ×4, first 2 shown]
	ds_write_b16 v0, v106
	ds_write_b16 v0, v9 offset:20
	ds_write_b16 v0, v108 offset:40
	;; [unrolled: 1-line block ×3, first 2 shown]
	v_mul_u32_u24_e32 v4, 0x78, v124
	v_lshlrev_b32_sdwa v8, v49, v125 dst_sel:DWORD dst_unused:UNUSED_PAD src0_sel:DWORD src1_sel:WORD_0
	v_fmac_f16_e32 v132, 0x3aee, v17
	v_mul_f16_e32 v17, 0x3aee, v161
	v_mul_f16_e32 v115, -0.5, v15
	v_mul_u32_u24_e32 v1, 0x78, v120
	v_lshlrev_b32_sdwa v90, v49, v122 dst_sel:DWORD dst_unused:UNUSED_PAD src0_sel:DWORD src1_sel:WORD_0
	v_add3_u32 v4, 0, v4, v8
	v_add_f16_e32 v8, v136, v5
	v_add_f16_e32 v94, v117, v94
	;; [unrolled: 1-line block ×3, first 2 shown]
	v_fmac_f16_e32 v17, 0.5, v160
	v_fmac_f16_e32 v115, 0x3aee, v132
	v_add3_u32 v1, 0, v1, v90
	v_add_f16_e32 v9, v143, v136
	v_fmac_f16_e32 v143, -0.5, v8
	v_sub_f16_e32 v3, v3, v6
	v_add_f16_e32 v99, v114, v94
	v_sub_f16_e32 v94, v114, v94
	v_add_f16_e32 v114, v112, v17
	;; [unrolled: 2-line block ×3, first 2 shown]
	v_sub_f16_e32 v66, v66, v115
	ds_write_b16 v0, v96 offset:80
	ds_write_b16 v0, v67 offset:100
	ds_write_b16 v1, v103
	ds_write_b16 v1, v95 offset:20
	ds_write_b16 v1, v109 offset:40
	;; [unrolled: 1-line block ×5, first 2 shown]
	ds_write_b16 v4, v99
	ds_write_b16 v4, v114 offset:20
	ds_write_b16 v4, v112 offset:40
	;; [unrolled: 1-line block ×5, first 2 shown]
	v_add_f16_e32 v5, v9, v5
	v_fmamk_f16 v8, v3, 0xbaee, v143
	v_add_f16_e32 v13, v138, v131
	v_fmac_f16_e32 v143, 0x3aee, v3
	v_add_f16_e32 v3, v134, v153
	s_waitcnt lgkmcnt(0)
	s_barrier
	buffer_gl0_inv
	ds_read_u16 v117, v25
	ds_read_u16 v114, v29
	;; [unrolled: 1-line block ×4, first 2 shown]
	ds_read_u16 v112, v27 offset:1152
	ds_read_u16 v110, v27 offset:1344
	;; [unrolled: 1-line block ×8, first 2 shown]
	ds_read_u16 v91, v47
	ds_read_u16 v92, v41
	;; [unrolled: 1-line block ×3, first 2 shown]
	ds_read_u16 v111, v27 offset:2304
	ds_read_u16 v115, v27 offset:2112
	;; [unrolled: 1-line block ×15, first 2 shown]
	s_waitcnt lgkmcnt(0)
	s_barrier
	buffer_gl0_inv
	ds_write_b16 v162, v123
	ds_write_b16 v162, v126 offset:20
	ds_write_b16 v162, v129 offset:40
	;; [unrolled: 1-line block ×3, first 2 shown]
	v_add_f16_e32 v17, v5, v13
	v_sub_f16_e32 v5, v5, v13
	v_add_f16_e32 v13, v142, v134
	v_fmac_f16_e32 v142, -0.5, v3
	v_sub_f16_e32 v3, v7, v148
	v_mul_f16_e32 v19, 0xbaee, v155
	v_mul_f16_e32 v67, -0.5, v135
	v_add_f16_e32 v13, v13, v153
	v_add_f16_e32 v99, v150, v130
	v_fmamk_f16 v66, v3, 0xbaee, v142
	v_fmac_f16_e32 v142, 0x3aee, v3
	v_fmac_f16_e32 v19, 0.5, v154
	v_add_f16_e32 v3, v12, v137
	v_fmac_f16_e32 v67, 0xbaee, v146
	v_add_f16_e32 v12, v141, v12
	v_mul_f16_e32 v6, 0xbaee, v149
	v_mul_f16_e32 v9, -0.5, v152
	v_fmac_f16_e32 v141, -0.5, v3
	v_sub_f16_e32 v3, v11, v14
	v_add_f16_e32 v11, v66, v19
	v_sub_f16_e32 v14, v66, v19
	v_add_f16_e32 v19, v142, v67
	v_sub_f16_e32 v66, v142, v67
	v_mul_f16_e32 v67, 0xbaee, v158
	v_add_f16_e32 v120, v13, v99
	v_sub_f16_e32 v13, v13, v99
	v_add_f16_e32 v12, v12, v137
	v_fmamk_f16 v99, v3, 0xbaee, v141
	v_mul_f16_e32 v122, -0.5, v133
	v_add_f16_e32 v121, v156, v121
	v_fmac_f16_e32 v141, 0x3aee, v3
	v_fmac_f16_e32 v67, 0.5, v157
	v_add_f16_e32 v3, v139, v147
	v_fmac_f16_e32 v6, 0.5, v145
	v_fmac_f16_e32 v9, 0xbaee, v151
	v_fmac_f16_e32 v122, 0xbaee, v10
	v_add_f16_e32 v10, v12, v121
	v_sub_f16_e32 v12, v12, v121
	v_add_f16_e32 v121, v140, v139
	v_fmac_f16_e32 v140, -0.5, v3
	v_sub_f16_e32 v3, v16, v18
	v_add_f16_e32 v16, v99, v67
	v_sub_f16_e32 v18, v99, v67
	v_mul_f16_e32 v99, 0xbaee, v160
	v_add_f16_e32 v7, v8, v6
	v_sub_f16_e32 v6, v8, v6
	v_add_f16_e32 v8, v143, v9
	ds_write_b16 v162, v127 offset:80
	ds_write_b16 v162, v144 offset:100
	v_sub_f16_e32 v9, v143, v9
	v_add_f16_e32 v121, v121, v147
	v_mul_f16_e32 v123, -0.5, v132
	v_add_f16_e32 v124, v159, v128
	v_fmamk_f16 v125, v3, 0xbaee, v140
	v_fmac_f16_e32 v99, 0.5, v161
	ds_write_b16 v2, v17
	ds_write_b16 v2, v7 offset:20
	ds_write_b16 v2, v8 offset:40
	;; [unrolled: 1-line block ×5, first 2 shown]
	ds_write_b16 v0, v120
	v_subrev_nc_u32_e32 v2, 60, v32
	v_fmac_f16_e32 v140, 0x3aee, v3
	v_fmac_f16_e32 v123, 0xbaee, v15
	v_add_f16_e32 v3, v121, v124
	v_sub_f16_e32 v15, v121, v124
	v_add_f16_e32 v121, v125, v99
	v_sub_f16_e32 v124, v125, v99
	v_cndmask_b32_e64 v99, v2, v32, s0
	v_add_f16_e32 v67, v141, v122
	ds_write_b16 v0, v11 offset:20
	ds_write_b16 v0, v19 offset:40
	;; [unrolled: 1-line block ×5, first 2 shown]
	ds_write_b16 v1, v10
	ds_write_b16 v1, v16 offset:20
	ds_write_b16 v1, v67 offset:40
	v_mov_b32_e32 v67, 0
	v_mul_i32_i24_e32 v66, 5, v99
	v_sub_f16_e32 v122, v141, v122
	ds_write_b16 v1, v12 offset:60
	ds_write_b16 v1, v18 offset:80
	;; [unrolled: 1-line block ×3, first 2 shown]
	ds_write_b16 v4, v3
	v_lshlrev_b64 v[0:1], 2, v[66:67]
	v_add_f16_e32 v125, v140, v123
	ds_write_b16 v4, v121 offset:20
	ds_write_b16 v4, v125 offset:40
	;; [unrolled: 1-line block ×4, first 2 shown]
	v_add_co_u32 v125, s0, s8, v0
	v_sub_f16_e32 v123, v140, v123
	v_add_co_ci_u32_e64 v126, s0, s9, v1, s0
	v_mov_b32_e32 v12, 0x8889
	v_cmp_lt_u32_e64 s0, 59, v32
	ds_write_b16 v4, v123 offset:100
	s_waitcnt lgkmcnt(0)
	s_barrier
	v_mul_lo_u16 v4, 0x89, v88
	buffer_gl0_inv
	global_load_dwordx4 v[0:3], v[125:126], off offset:200
	v_mul_u32_u24_sdwa v5, v36, v12 dst_sel:DWORD dst_unused:UNUSED_PAD src0_sel:WORD_0 src1_sel:DWORD
	v_mul_u32_u24_sdwa v9, v59, v12 dst_sel:DWORD dst_unused:UNUSED_PAD src0_sel:WORD_0 src1_sel:DWORD
	v_lshrrev_b16 v66, 13, v4
	v_mul_u32_u24_sdwa v12, v68, v12 dst_sel:DWORD dst_unused:UNUSED_PAD src0_sel:WORD_0 src1_sel:DWORD
	v_lshlrev_b32_e32 v99, 1, v99
	v_lshrrev_b32_e32 v88, 21, v5
	v_lshrrev_b32_e32 v122, 21, v9
	v_mul_lo_u16 v4, v66, 60
	v_lshrrev_b32_e32 v124, 21, v12
	v_mul_lo_u16 v5, v88, 60
	v_mul_lo_u16 v13, v122, 60
	v_sub_nc_u16 v121, v38, v4
	v_mul_lo_u16 v16, v124, 60
	v_sub_nc_u16 v120, v36, v5
	v_sub_nc_u16 v123, v59, v13
	v_mul_u32_u24_sdwa v4, v121, v87 dst_sel:DWORD dst_unused:UNUSED_PAD src0_sel:BYTE_0 src1_sel:DWORD
	v_sub_nc_u16 v68, v68, v16
	v_mul_u32_u24_sdwa v8, v120, v87 dst_sel:DWORD dst_unused:UNUSED_PAD src0_sel:WORD_0 src1_sel:DWORD
	v_mul_u32_u24_sdwa v13, v123, v87 dst_sel:DWORD dst_unused:UNUSED_PAD src0_sel:WORD_0 src1_sel:DWORD
	v_lshlrev_b32_e32 v127, 2, v4
	v_mul_u32_u24_sdwa v16, v68, v87 dst_sel:DWORD dst_unused:UNUSED_PAD src0_sel:WORD_0 src1_sel:DWORD
	v_lshlrev_b32_e32 v129, 2, v8
	v_lshlrev_b32_e32 v130, 2, v13
	global_load_dwordx4 v[4:7], v127, s[8:9] offset:200
	v_lshlrev_b32_e32 v87, 2, v16
	s_clause 0x7
	global_load_dwordx4 v[8:11], v129, s[8:9] offset:200
	global_load_dwordx4 v[12:15], v130, s[8:9] offset:200
	;; [unrolled: 1-line block ×3, first 2 shown]
	global_load_dword v128, v[125:126], off offset:216
	global_load_dword v127, v127, s[8:9] offset:216
	global_load_dword v126, v129, s[8:9] offset:216
	;; [unrolled: 1-line block ×4, first 2 shown]
	ds_read_u16 v133, v25
	ds_read_u16 v132, v29
	ds_read_u16 v131, v27 offset:2880
	ds_read_u16 v130, v27 offset:3840
	;; [unrolled: 1-line block ×3, first 2 shown]
	ds_read_u16 v135, v31
	ds_read_u16 v134, v86
	;; [unrolled: 1-line block ×4, first 2 shown]
	ds_read_u16 v139, v27 offset:3072
	ds_read_u16 v140, v27 offset:3264
	;; [unrolled: 1-line block ×7, first 2 shown]
	s_waitcnt vmcnt(9) lgkmcnt(15)
	v_mul_f16_sdwa v138, v133, v0 dst_sel:DWORD dst_unused:UNUSED_PAD src0_sel:DWORD src1_sel:WORD_1
	s_waitcnt lgkmcnt(14)
	v_mul_f16_sdwa v144, v132, v1 dst_sel:DWORD dst_unused:UNUSED_PAD src0_sel:DWORD src1_sel:WORD_1
	v_mul_f16_sdwa v147, v114, v1 dst_sel:DWORD dst_unused:UNUSED_PAD src0_sel:DWORD src1_sel:WORD_1
	s_waitcnt lgkmcnt(13)
	v_mul_f16_sdwa v148, v131, v2 dst_sel:DWORD dst_unused:UNUSED_PAD src0_sel:DWORD src1_sel:WORD_1
	v_fma_f16 v138, v117, v0, -v138
	v_mul_f16_sdwa v117, v117, v0 dst_sel:DWORD dst_unused:UNUSED_PAD src0_sel:DWORD src1_sel:WORD_1
	v_fmac_f16_e32 v147, v132, v1
	v_fmac_f16_e32 v117, v133, v0
	v_fma_f16 v0, v114, v1, -v144
	v_mul_f16_sdwa v114, v119, v2 dst_sel:DWORD dst_unused:UNUSED_PAD src0_sel:DWORD src1_sel:WORD_1
	s_waitcnt lgkmcnt(12)
	v_mul_f16_sdwa v133, v130, v3 dst_sel:DWORD dst_unused:UNUSED_PAD src0_sel:DWORD src1_sel:WORD_1
	v_mul_f16_sdwa v1, v118, v3 dst_sel:DWORD dst_unused:UNUSED_PAD src0_sel:DWORD src1_sel:WORD_1
	v_fma_f16 v119, v119, v2, -v148
	v_fmac_f16_e32 v114, v131, v2
	v_fma_f16 v2, v118, v3, -v133
	ds_read_u16 v118, v27 offset:1344
	v_fmac_f16_e32 v1, v130, v3
	ds_read_u16 v3, v27 offset:1536
	ds_read_u16 v130, v27 offset:2304
	;; [unrolled: 1-line block ×4, first 2 shown]
	ds_read_u16 v133, v27
	s_waitcnt vmcnt(8) lgkmcnt(7)
	v_mul_f16_sdwa v144, v145, v4 dst_sel:DWORD dst_unused:UNUSED_PAD src0_sel:DWORD src1_sel:WORD_1
	v_mul_f16_sdwa v148, v112, v4 dst_sel:DWORD dst_unused:UNUSED_PAD src0_sel:DWORD src1_sel:WORD_1
	s_waitcnt lgkmcnt(6)
	v_mul_f16_sdwa v149, v146, v5 dst_sel:DWORD dst_unused:UNUSED_PAD src0_sel:DWORD src1_sel:WORD_1
	v_mul_f16_sdwa v150, v115, v5 dst_sel:DWORD dst_unused:UNUSED_PAD src0_sel:DWORD src1_sel:WORD_1
	;; [unrolled: 1-line block ×3, first 2 shown]
	v_fma_f16 v112, v112, v4, -v144
	v_fmac_f16_e32 v148, v145, v4
	v_fma_f16 v4, v115, v5, -v149
	v_fmac_f16_e32 v150, v146, v5
	v_mul_f16_sdwa v5, v116, v6 dst_sel:DWORD dst_unused:UNUSED_PAD src0_sel:DWORD src1_sel:WORD_1
	v_fma_f16 v115, v116, v6, -v151
	v_mul_f16_sdwa v116, v129, v7 dst_sel:DWORD dst_unused:UNUSED_PAD src0_sel:DWORD src1_sel:WORD_1
	v_mul_f16_sdwa v144, v113, v7 dst_sel:DWORD dst_unused:UNUSED_PAD src0_sel:DWORD src1_sel:WORD_1
	s_waitcnt vmcnt(7) lgkmcnt(5)
	v_mul_f16_sdwa v145, v118, v8 dst_sel:DWORD dst_unused:UNUSED_PAD src0_sel:DWORD src1_sel:WORD_1
	v_fmac_f16_e32 v5, v139, v6
	ds_read_u16 v6, v27 offset:4224
	v_fma_f16 v113, v113, v7, -v116
	v_mul_f16_sdwa v116, v110, v8 dst_sel:DWORD dst_unused:UNUSED_PAD src0_sel:DWORD src1_sel:WORD_1
	v_fmac_f16_e32 v144, v129, v7
	v_fma_f16 v7, v110, v8, -v145
	s_waitcnt lgkmcnt(4)
	v_mul_f16_sdwa v110, v130, v9 dst_sel:DWORD dst_unused:UNUSED_PAD src0_sel:DWORD src1_sel:WORD_1
	v_mul_f16_sdwa v129, v111, v9 dst_sel:DWORD dst_unused:UNUSED_PAD src0_sel:DWORD src1_sel:WORD_1
	v_fmac_f16_e32 v116, v118, v8
	v_mul_f16_sdwa v8, v140, v10 dst_sel:DWORD dst_unused:UNUSED_PAD src0_sel:DWORD src1_sel:WORD_1
	v_mul_f16_sdwa v118, v109, v10 dst_sel:DWORD dst_unused:UNUSED_PAD src0_sel:DWORD src1_sel:WORD_1
	v_fma_f16 v111, v111, v9, -v110
	v_fmac_f16_e32 v129, v130, v9
	ds_read_u16 v9, v27 offset:4416
	v_fma_f16 v8, v109, v10, -v8
	ds_read_u16 v109, v27 offset:5184
	ds_read_u16 v110, v27 offset:5376
	;; [unrolled: 1-line block ×6, first 2 shown]
	v_mul_f16_sdwa v151, v108, v11 dst_sel:DWORD dst_unused:UNUSED_PAD src0_sel:DWORD src1_sel:WORD_1
	s_waitcnt vmcnt(6)
	v_mul_f16_sdwa v152, v3, v12 dst_sel:DWORD dst_unused:UNUSED_PAD src0_sel:DWORD src1_sel:WORD_1
	v_mul_f16_sdwa v153, v105, v12 dst_sel:DWORD dst_unused:UNUSED_PAD src0_sel:DWORD src1_sel:WORD_1
	v_fmac_f16_e32 v118, v140, v10
	v_mul_f16_sdwa v10, v141, v14 dst_sel:DWORD dst_unused:UNUSED_PAD src0_sel:DWORD src1_sel:WORD_1
	s_waitcnt lgkmcnt(7)
	v_mul_f16_sdwa v149, v6, v11 dst_sel:DWORD dst_unused:UNUSED_PAD src0_sel:DWORD src1_sel:WORD_1
	v_fmac_f16_e32 v151, v6, v11
	v_fma_f16 v6, v105, v12, -v152
	v_fmac_f16_e32 v153, v3, v12
	v_mul_f16_sdwa v3, v131, v13 dst_sel:DWORD dst_unused:UNUSED_PAD src0_sel:DWORD src1_sel:WORD_1
	v_fma_f16 v140, v108, v11, -v149
	v_mul_f16_sdwa v149, v101, v13 dst_sel:DWORD dst_unused:UNUSED_PAD src0_sel:DWORD src1_sel:WORD_1
	v_mul_f16_sdwa v11, v103, v14 dst_sel:DWORD dst_unused:UNUSED_PAD src0_sel:DWORD src1_sel:WORD_1
	s_waitcnt vmcnt(5)
	v_mul_f16_sdwa v152, v104, v16 dst_sel:DWORD dst_unused:UNUSED_PAD src0_sel:DWORD src1_sel:WORD_1
	v_fma_f16 v3, v101, v13, -v3
	v_fma_f16 v10, v103, v14, -v10
	v_fmac_f16_e32 v149, v131, v13
	s_waitcnt lgkmcnt(6)
	v_mul_f16_sdwa v12, v9, v15 dst_sel:DWORD dst_unused:UNUSED_PAD src0_sel:DWORD src1_sel:WORD_1
	v_mul_f16_sdwa v13, v143, v17 dst_sel:DWORD dst_unused:UNUSED_PAD src0_sel:DWORD src1_sel:WORD_1
	v_fmac_f16_e32 v11, v141, v14
	v_mul_f16_sdwa v141, v102, v15 dst_sel:DWORD dst_unused:UNUSED_PAD src0_sel:DWORD src1_sel:WORD_1
	v_fmac_f16_e32 v152, v132, v16
	v_fma_f16 v131, v102, v15, -v12
	v_mul_f16_sdwa v12, v132, v16 dst_sel:DWORD dst_unused:UNUSED_PAD src0_sel:DWORD src1_sel:WORD_1
	v_fma_f16 v132, v107, v17, -v13
	s_waitcnt lgkmcnt(2)
	v_mul_f16_sdwa v13, v139, v19 dst_sel:DWORD dst_unused:UNUSED_PAD src0_sel:DWORD src1_sel:WORD_1
	v_fmac_f16_e32 v141, v9, v15
	v_mul_f16_sdwa v9, v142, v18 dst_sel:DWORD dst_unused:UNUSED_PAD src0_sel:DWORD src1_sel:WORD_1
	v_fma_f16 v155, v104, v16, -v12
	v_mul_f16_sdwa v12, v98, v18 dst_sel:DWORD dst_unused:UNUSED_PAD src0_sel:DWORD src1_sel:WORD_1
	s_waitcnt vmcnt(4) lgkmcnt(0)
	v_mul_f16_sdwa v14, v146, v128 dst_sel:DWORD dst_unused:UNUSED_PAD src0_sel:DWORD src1_sel:WORD_1
	v_mul_f16_sdwa v154, v107, v17 dst_sel:DWORD dst_unused:UNUSED_PAD src0_sel:DWORD src1_sel:WORD_1
	s_waitcnt vmcnt(2)
	v_mul_f16_sdwa v16, v109, v126 dst_sel:DWORD dst_unused:UNUSED_PAD src0_sel:DWORD src1_sel:WORD_1
	v_fma_f16 v9, v98, v18, -v9
	v_fmac_f16_e32 v12, v142, v18
	v_fma_f16 v142, v106, v19, -v13
	v_mul_f16_sdwa v13, v100, v128 dst_sel:DWORD dst_unused:UNUSED_PAD src0_sel:DWORD src1_sel:WORD_1
	v_fma_f16 v14, v100, v128, -v14
	v_fmac_f16_e32 v154, v143, v17
	v_mul_f16_sdwa v143, v106, v19 dst_sel:DWORD dst_unused:UNUSED_PAD src0_sel:DWORD src1_sel:WORD_1
	v_fma_f16 v16, v96, v126, -v16
	v_fmac_f16_e32 v13, v146, v128
	v_mul_f16_sdwa v128, v96, v126 dst_sel:DWORD dst_unused:UNUSED_PAD src0_sel:DWORD src1_sel:WORD_1
	s_waitcnt vmcnt(0)
	v_mul_f16_sdwa v18, v130, v87 dst_sel:DWORD dst_unused:UNUSED_PAD src0_sel:DWORD src1_sel:WORD_1
	v_fmac_f16_e32 v143, v139, v19
	v_mul_f16_sdwa v15, v145, v127 dst_sel:DWORD dst_unused:UNUSED_PAD src0_sel:DWORD src1_sel:WORD_1
	v_mul_f16_sdwa v139, v97, v127 dst_sel:DWORD dst_unused:UNUSED_PAD src0_sel:DWORD src1_sel:WORD_1
	v_fmac_f16_e32 v128, v109, v126
	v_mul_f16_sdwa v126, v94, v87 dst_sel:DWORD dst_unused:UNUSED_PAD src0_sel:DWORD src1_sel:WORD_1
	v_mul_f16_sdwa v17, v110, v125 dst_sel:DWORD dst_unused:UNUSED_PAD src0_sel:DWORD src1_sel:WORD_1
	v_add_f16_e32 v19, v0, v2
	v_fma_f16 v18, v94, v87, -v18
	v_add_f16_e32 v94, v93, v0
	v_fmac_f16_e32 v126, v130, v87
	v_add_f16_e32 v87, v147, v1
	v_fma_f16 v15, v97, v127, -v15
	v_fmac_f16_e32 v139, v145, v127
	v_mul_f16_sdwa v127, v95, v125 dst_sel:DWORD dst_unused:UNUSED_PAD src0_sel:DWORD src1_sel:WORD_1
	v_fma_f16 v17, v95, v125, -v17
	v_fmac_f16_e32 v93, -0.5, v19
	v_add_f16_e32 v19, v133, v147
	v_sub_f16_e32 v95, v147, v1
	v_fmac_f16_e32 v133, -0.5, v87
	v_add_f16_e32 v87, v94, v2
	v_sub_f16_e32 v0, v0, v2
	v_add_f16_e32 v2, v119, v14
	v_add_f16_e32 v96, v114, v13
	v_fmamk_f16 v94, v95, 0x3aee, v93
	v_fmac_f16_e32 v93, 0xbaee, v95
	v_add_f16_e32 v95, v138, v119
	v_fmac_f16_e32 v138, -0.5, v2
	v_add_f16_e32 v2, v117, v114
	v_fmac_f16_e32 v117, -0.5, v96
	v_sub_f16_e32 v96, v119, v14
	v_sub_f16_e32 v97, v114, v13
	v_add_f16_e32 v1, v19, v1
	v_fmamk_f16 v19, v0, 0xbaee, v133
	v_fmac_f16_e32 v133, 0x3aee, v0
	v_fmamk_f16 v0, v96, 0xbaee, v117
	v_fmamk_f16 v98, v97, 0x3aee, v138
	v_fmac_f16_e32 v138, 0xbaee, v97
	v_fmac_f16_e32 v117, 0x3aee, v96
	v_add_f16_e32 v14, v95, v14
	v_mul_f16_e32 v95, 0x3aee, v0
	v_mul_f16_e32 v96, 0xbaee, v98
	v_mul_f16_e32 v97, -0.5, v138
	v_add_f16_e32 v2, v2, v13
	v_mul_f16_e32 v100, -0.5, v117
	v_fmac_f16_e32 v95, 0.5, v98
	v_fmac_f16_e32 v96, 0.5, v0
	v_fmac_f16_e32 v97, 0x3aee, v117
	v_add_f16_e32 v0, v87, v14
	v_sub_f16_e32 v13, v87, v14
	v_add_f16_e32 v14, v94, v95
	v_sub_f16_e32 v87, v94, v95
	;; [unrolled: 2-line block ×4, first 2 shown]
	v_add_f16_e32 v19, v115, v15
	v_add_f16_e32 v95, v5, v139
	v_fmac_f16_e32 v127, v110, v125
	v_fmac_f16_e32 v100, 0xbaee, v138
	v_add_f16_e32 v94, v93, v97
	v_sub_f16_e32 v93, v93, v97
	v_add_f16_e32 v97, v112, v115
	v_fmac_f16_e32 v112, -0.5, v19
	v_add_f16_e32 v125, v148, v5
	v_fmac_f16_e32 v148, -0.5, v95
	v_sub_f16_e32 v19, v115, v15
	v_sub_f16_e32 v5, v5, v139
	v_add_f16_e32 v119, v133, v100
	v_add_f16_e32 v96, v4, v113
	v_sub_f16_e32 v115, v133, v100
	v_fmamk_f16 v130, v19, 0xbaee, v148
	v_fmamk_f16 v133, v5, 0x3aee, v112
	v_fmac_f16_e32 v112, 0xbaee, v5
	v_add_f16_e32 v95, v92, v4
	v_fmac_f16_e32 v92, -0.5, v96
	v_sub_f16_e32 v5, v150, v144
	v_mul_f16_e32 v96, 0x3aee, v130
	v_fmac_f16_e32 v148, 0x3aee, v19
	v_mul_f16_e32 v19, -0.5, v112
	v_add_f16_e32 v15, v97, v15
	v_add_f16_e32 v95, v95, v113
	v_fmamk_f16 v97, v5, 0x3aee, v92
	v_fmac_f16_e32 v96, 0.5, v133
	v_fmac_f16_e32 v92, 0xbaee, v5
	v_fmac_f16_e32 v19, 0x3aee, v148
	v_add_f16_e32 v102, v3, v131
	v_add_f16_e32 v104, v10, v17
	;; [unrolled: 1-line block ×3, first 2 shown]
	v_sub_f16_e32 v15, v95, v15
	v_add_f16_e32 v95, v97, v96
	v_sub_f16_e32 v96, v97, v96
	v_add_f16_e32 v97, v92, v19
	;; [unrolled: 2-line block ×3, first 2 shown]
	v_add_f16_e32 v100, v8, v16
	v_add_f16_e32 v103, v90, v3
	v_fmac_f16_e32 v90, -0.5, v102
	v_add_f16_e32 v102, v11, v127
	v_add_f16_e32 v106, v6, v10
	v_fmac_f16_e32 v6, -0.5, v104
	v_add_f16_e32 v146, v153, v11
	v_sub_f16_e32 v11, v11, v127
	v_add_f16_e32 v101, v7, v8
	v_add_f16_e32 v138, v116, v118
	v_fmac_f16_e32 v116, -0.5, v92
	v_sub_f16_e32 v8, v8, v16
	v_fmac_f16_e32 v7, -0.5, v100
	v_sub_f16_e32 v92, v118, v128
	v_sub_f16_e32 v10, v10, v17
	v_add_f16_e32 v17, v106, v17
	v_fmamk_f16 v147, v11, 0x3aee, v6
	v_fmac_f16_e32 v6, 0xbaee, v11
	v_add_f16_e32 v11, v103, v131
	v_add_f16_e32 v104, v132, v142
	;; [unrolled: 1-line block ×4, first 2 shown]
	v_fmamk_f16 v118, v8, 0xbaee, v116
	v_fmamk_f16 v145, v92, 0x3aee, v7
	v_fmac_f16_e32 v7, 0xbaee, v92
	v_fmac_f16_e32 v153, -0.5, v102
	v_add_f16_e32 v103, v11, v17
	v_sub_f16_e32 v11, v11, v17
	v_add_f16_e32 v17, v89, v132
	v_fmac_f16_e32 v89, -0.5, v104
	v_add_f16_e32 v104, v12, v126
	v_add_f16_e32 v107, v9, v18
	v_fmac_f16_e32 v91, -0.5, v98
	v_sub_f16_e32 v98, v129, v151
	v_mul_f16_e32 v92, 0x3aee, v118
	v_fmac_f16_e32 v116, 0x3aee, v8
	v_add_f16_e32 v8, v100, v140
	v_mul_f16_e32 v100, -0.5, v7
	v_fmamk_f16 v156, v10, 0xbaee, v153
	v_add_f16_e32 v157, v152, v12
	v_fmac_f16_e32 v152, -0.5, v104
	v_sub_f16_e32 v104, v9, v18
	v_add_f16_e32 v9, v155, v9
	v_fmac_f16_e32 v155, -0.5, v107
	v_sub_f16_e32 v12, v12, v126
	v_add_f16_e32 v16, v101, v16
	v_fmamk_f16 v101, v98, 0x3aee, v91
	v_fmac_f16_e32 v92, 0.5, v145
	v_fmac_f16_e32 v91, 0xbaee, v98
	v_fmac_f16_e32 v100, 0x3aee, v116
	v_sub_f16_e32 v105, v149, v141
	v_fmac_f16_e32 v153, 0x3aee, v10
	v_mul_f16_e32 v10, 0x3aee, v156
	v_mul_f16_e32 v102, -0.5, v6
	v_fmamk_f16 v158, v104, 0xbaee, v152
	v_fmamk_f16 v159, v12, 0x3aee, v155
	v_fmac_f16_e32 v155, 0xbaee, v12
	v_add_f16_e32 v98, v8, v16
	v_sub_f16_e32 v8, v8, v16
	v_add_f16_e32 v16, v101, v92
	v_sub_f16_e32 v92, v101, v92
	;; [unrolled: 2-line block ×3, first 2 shown]
	v_fmamk_f16 v100, v105, 0x3aee, v90
	v_fmac_f16_e32 v90, 0xbaee, v105
	v_fmac_f16_e32 v10, 0.5, v147
	v_fmac_f16_e32 v102, 0x3aee, v153
	v_sub_f16_e32 v105, v154, v143
	v_mul_f16_e32 v107, 0x3aee, v158
	v_add_f16_e32 v12, v17, v142
	v_fmac_f16_e32 v152, 0x3aee, v104
	v_mul_f16_e32 v17, -0.5, v155
	v_cndmask_b32_e64 v104, 0, 0x2d0, s0
	v_add_f16_e32 v106, v100, v10
	v_sub_f16_e32 v10, v100, v10
	v_add_f16_e32 v100, v90, v102
	v_sub_f16_e32 v90, v90, v102
	v_fmamk_f16 v102, v105, 0x3aee, v89
	v_add_f16_e32 v9, v9, v18
	v_fmac_f16_e32 v107, 0.5, v159
	v_fmac_f16_e32 v89, 0xbaee, v105
	v_fmac_f16_e32 v17, 0x3aee, v152
	v_mov_b32_e32 v105, 0x2d0
	v_add3_u32 v160, 0, v104, v99
	v_add_f16_e32 v18, v12, v9
	v_sub_f16_e32 v9, v12, v9
	v_add_f16_e32 v12, v102, v107
	v_sub_f16_e32 v102, v102, v107
	;; [unrolled: 2-line block ×3, first 2 shown]
	v_mul_u32_u24_sdwa v66, v66, v105 dst_sel:DWORD dst_unused:UNUSED_PAD src0_sel:WORD_0 src1_sel:DWORD
	v_lshlrev_b32_sdwa v89, v49, v121 dst_sel:DWORD dst_unused:UNUSED_PAD src0_sel:DWORD src1_sel:BYTE_0
	s_barrier
	buffer_gl0_inv
	ds_write_b16 v160, v0
	ds_write_b16 v160, v14 offset:120
	ds_write_b16 v160, v94 offset:240
	;; [unrolled: 1-line block ×3, first 2 shown]
	v_mul_u32_u24_e32 v13, 0x2d0, v88
	v_lshlrev_b32_sdwa v14, v49, v120 dst_sel:DWORD dst_unused:UNUSED_PAD src0_sel:DWORD src1_sel:WORD_0
	v_add3_u32 v0, 0, v66, v89
	ds_write_b16 v160, v87 offset:480
	ds_write_b16 v160, v93 offset:600
	ds_write_b16 v0, v5
	ds_write_b16 v0, v95 offset:120
	v_add3_u32 v5, 0, v13, v14
	v_mul_u32_u24_e32 v13, 0x2d0, v122
	v_lshlrev_b32_sdwa v14, v49, v123 dst_sel:DWORD dst_unused:UNUSED_PAD src0_sel:DWORD src1_sel:WORD_0
	ds_write_b16 v0, v97 offset:240
	ds_write_b16 v0, v15 offset:360
	;; [unrolled: 1-line block ×4, first 2 shown]
	ds_write_b16 v5, v98
	ds_write_b16 v5, v16 offset:120
	ds_write_b16 v5, v101 offset:240
	;; [unrolled: 1-line block ×3, first 2 shown]
	v_mul_u32_u24_e32 v8, 0x2d0, v124
	v_add3_u32 v66, 0, v13, v14
	v_lshlrev_b32_sdwa v13, v49, v68 dst_sel:DWORD dst_unused:UNUSED_PAD src0_sel:DWORD src1_sel:WORD_0
	ds_write_b16 v5, v92 offset:480
	ds_write_b16 v5, v91 offset:600
	ds_write_b16 v66, v103
	ds_write_b16 v66, v106 offset:120
	v_lshl_add_u32 v14, v48, 1, 0
	v_lshl_add_u32 v15, v50, 1, 0
	v_add3_u32 v120, 0, v8, v13
	ds_write_b16 v66, v100 offset:240
	ds_write_b16 v66, v11 offset:360
	;; [unrolled: 1-line block ×4, first 2 shown]
	ds_write_b16 v120, v18
	ds_write_b16 v120, v12 offset:120
	ds_write_b16 v120, v107 offset:240
	;; [unrolled: 1-line block ×5, first 2 shown]
	v_lshl_add_u32 v12, v45, 1, 0
	v_lshl_add_u32 v13, v46, 1, 0
	s_waitcnt lgkmcnt(0)
	s_barrier
	buffer_gl0_inv
	ds_read_u16 v87, v25
	v_lshl_add_u32 v8, v65, 1, 0
	v_lshl_add_u32 v9, v40, 1, 0
	;; [unrolled: 1-line block ×4, first 2 shown]
	ds_read_u16 v95, v27
	ds_read_u16 v110, v27 offset:2880
	ds_read_u16 v108, v27 offset:3072
	;; [unrolled: 1-line block ×7, first 2 shown]
	ds_read_u16 v90, v8
	ds_read_u16 v88, v9
	;; [unrolled: 1-line block ×13, first 2 shown]
	ds_read_u16 v109, v27 offset:4224
	ds_read_u16 v107, v27 offset:4416
	;; [unrolled: 1-line block ×8, first 2 shown]
	s_waitcnt lgkmcnt(0)
	s_barrier
	buffer_gl0_inv
	ds_write_b16 v160, v114
	ds_write_b16 v160, v2 offset:120
	ds_write_b16 v160, v119 offset:240
	v_add_f16_e32 v2, v150, v144
	ds_write_b16 v160, v1 offset:360
	ds_write_b16 v160, v117 offset:480
	v_add_f16_e32 v1, v137, v150
	v_add_f16_e32 v114, v125, v139
	ds_write_b16 v160, v115 offset:600
	v_fmac_f16_e32 v137, -0.5, v2
	v_sub_f16_e32 v2, v4, v113
	v_mul_f16_e32 v4, 0xbaee, v133
	v_add_f16_e32 v1, v1, v144
	v_mul_f16_e32 v113, -0.5, v148
	v_mul_f16_e32 v119, -0.5, v152
	v_fmamk_f16 v115, v2, 0xbaee, v137
	v_fmac_f16_e32 v4, 0.5, v130
	v_fmac_f16_e32 v137, 0x3aee, v2
	v_add_f16_e32 v2, v1, v114
	v_fmac_f16_e32 v113, 0xbaee, v112
	v_sub_f16_e32 v1, v1, v114
	v_add_f16_e32 v112, v115, v4
	v_sub_f16_e32 v4, v115, v4
	ds_write_b16 v0, v2
	v_add_f16_e32 v2, v129, v151
	v_add_f16_e32 v114, v137, v113
	ds_write_b16 v0, v112 offset:120
	ds_write_b16 v0, v114 offset:240
	;; [unrolled: 1-line block ×3, first 2 shown]
	v_add_f16_e32 v1, v136, v129
	v_fmac_f16_e32 v136, -0.5, v2
	v_sub_f16_e32 v2, v111, v140
	v_sub_f16_e32 v113, v137, v113
	ds_write_b16 v0, v4 offset:480
	ds_write_b16 v0, v113 offset:600
	v_add_f16_e32 v0, v1, v151
	v_fmamk_f16 v4, v2, 0xbaee, v136
	v_mul_f16_e32 v111, -0.5, v116
	v_add_f16_e32 v112, v138, v128
	v_fmac_f16_e32 v136, 0x3aee, v2
	v_add_f16_e32 v2, v149, v141
	v_mul_f16_e32 v1, 0xbaee, v145
	v_fmac_f16_e32 v111, 0xbaee, v7
	v_add_f16_e32 v7, v0, v112
	v_sub_f16_e32 v0, v0, v112
	v_add_f16_e32 v112, v135, v149
	v_fmac_f16_e32 v135, -0.5, v2
	v_sub_f16_e32 v2, v3, v131
	v_mul_f16_e32 v115, -0.5, v153
	v_add_f16_e32 v116, v146, v127
	v_add_f16_e32 v112, v112, v141
	v_fmac_f16_e32 v1, 0.5, v118
	v_fmamk_f16 v114, v2, 0xbaee, v135
	v_fmac_f16_e32 v135, 0x3aee, v2
	v_add_f16_e32 v2, v154, v143
	v_mul_f16_e32 v113, 0xbaee, v147
	v_fmac_f16_e32 v115, 0xbaee, v6
	v_add_f16_e32 v6, v112, v116
	v_sub_f16_e32 v112, v112, v116
	v_add_f16_e32 v116, v134, v154
	v_fmac_f16_e32 v134, -0.5, v2
	v_sub_f16_e32 v2, v132, v142
	v_mul_f16_e32 v118, 0xbaee, v159
	v_fmac_f16_e32 v113, 0.5, v156
	v_add_f16_e32 v116, v116, v143
	v_add_f16_e32 v121, v157, v126
	v_fmamk_f16 v122, v2, 0xbaee, v134
	v_fmac_f16_e32 v118, 0.5, v158
	v_fmac_f16_e32 v134, 0x3aee, v2
	v_fmac_f16_e32 v119, 0xbaee, v155
	v_add_f16_e32 v3, v4, v1
	v_sub_f16_e32 v1, v4, v1
	v_add_f16_e32 v4, v136, v111
	v_sub_f16_e32 v111, v136, v111
	;; [unrolled: 2-line block ×6, first 2 shown]
	v_add_f16_e32 v122, v134, v119
	ds_write_b16 v5, v7
	ds_write_b16 v5, v3 offset:120
	ds_write_b16 v5, v4 offset:240
	;; [unrolled: 1-line block ×5, first 2 shown]
	ds_write_b16 v66, v6
	ds_write_b16 v66, v117 offset:120
	ds_write_b16 v66, v114 offset:240
	;; [unrolled: 1-line block ×5, first 2 shown]
	ds_write_b16 v120, v2
	ds_write_b16 v120, v121 offset:120
	ds_write_b16 v120, v122 offset:240
	;; [unrolled: 1-line block ×4, first 2 shown]
	v_lshlrev_b64 v[0:1], 2, v[32:33]
	v_lshlrev_b64 v[2:3], 2, v[63:64]
	v_add_nc_u32_e32 v6, 0xffffffb8, v32
	v_sub_f16_e32 v119, v134, v119
	v_add_co_u32 v4, s0, s8, v0
	v_add_co_ci_u32_e64 v5, s0, s9, v1, s0
	v_cmp_gt_u32_e64 s0, 0x48, v32
	v_lshlrev_b64 v[0:1], 2, v[61:62]
	ds_write_b16 v120, v119 offset:600
	s_waitcnt lgkmcnt(0)
	s_barrier
	v_cndmask_b32_e64 v66, v6, v59, s0
	v_add_co_u32 v2, s0, s8, v2
	v_add_co_ci_u32_e64 v3, s0, s9, v3, s0
	v_add_co_u32 v0, s0, s8, v0
	v_add_co_ci_u32_e64 v1, s0, s9, v1, s0
	v_lshlrev_b64 v[6:7], 2, v[66:67]
	v_mov_b32_e32 v59, 0x2d83
	buffer_gl0_inv
	s_clause 0x4
	global_load_dword v64, v[0:1], off offset:1400
	global_load_dword v111, v[4:5], off offset:1400
	global_load_dword v112, v[4:5], off offset:1496
	global_load_dword v113, v[2:3], off offset:1400
	global_load_dword v114, v[4:5], off offset:1880
	v_mov_b32_e32 v119, 2
	v_lshlrev_b32_e32 v66, 1, v66
	v_mul_u32_u24_sdwa v63, v40, v59 dst_sel:DWORD dst_unused:UNUSED_PAD src0_sel:WORD_0 src1_sel:DWORD
	v_add_co_u32 v61, s0, s8, v6
	v_mul_u32_u24_sdwa v116, v42, v59 dst_sel:DWORD dst_unused:UNUSED_PAD src0_sel:WORD_0 src1_sel:DWORD
	v_mul_u32_u24_sdwa v117, v43, v59 dst_sel:DWORD dst_unused:UNUSED_PAD src0_sel:WORD_0 src1_sel:DWORD
	v_add_co_ci_u32_e64 v62, s0, s9, v7, s0
	v_add_co_u32 v6, s0, 0x800, v4
	v_lshrrev_b32_e32 v63, 22, v63
	v_add_co_ci_u32_e64 v7, s0, 0, v5, s0
	v_mul_u32_u24_sdwa v118, v44, v59 dst_sel:DWORD dst_unused:UNUSED_PAD src0_sel:WORD_0 src1_sel:DWORD
	v_lshrrev_b32_e32 v116, 22, v116
	v_lshrrev_b32_e32 v117, 22, v117
	v_mul_u32_u24_sdwa v120, v46, v59 dst_sel:DWORD dst_unused:UNUSED_PAD src0_sel:WORD_0 src1_sel:DWORD
	s_clause 0x1
	global_load_dword v61, v[61:62], off offset:1400
	global_load_dword v122, v[6:7], off offset:216
	v_mul_lo_u16 v115, 0x168, v63
	v_lshrrev_b32_e32 v62, 22, v118
	v_mul_lo_u16 v116, 0x168, v116
	v_mul_lo_u16 v117, 0x168, v117
	v_lshrrev_b32_e32 v120, 22, v120
	v_mul_u32_u24_sdwa v124, v48, v59 dst_sel:DWORD dst_unused:UNUSED_PAD src0_sel:WORD_0 src1_sel:DWORD
	v_mul_u32_u24_sdwa v118, v45, v59 dst_sel:DWORD dst_unused:UNUSED_PAD src0_sel:WORD_0 src1_sel:DWORD
	;; [unrolled: 1-line block ×3, first 2 shown]
	v_sub_nc_u16 v115, v40, v115
	v_mul_lo_u16 v62, 0x168, v62
	v_sub_nc_u16 v116, v42, v116
	v_sub_nc_u16 v117, v43, v117
	v_mul_lo_u16 v120, 0x168, v120
	v_lshrrev_b32_e32 v124, 22, v124
	v_lshrrev_b32_e32 v59, 22, v59
	;; [unrolled: 1-line block ×3, first 2 shown]
	v_sub_nc_u16 v62, v44, v62
	v_and_b32_e32 v116, 0xffff, v116
	v_lshlrev_b32_sdwa v123, v119, v115 dst_sel:DWORD dst_unused:UNUSED_PAD src0_sel:DWORD src1_sel:WORD_0
	v_and_b32_e32 v117, 0xffff, v117
	v_sub_nc_u16 v120, v46, v120
	v_mul_lo_u16 v124, 0x168, v124
	v_mul_lo_u16 v59, 0x168, v59
	;; [unrolled: 1-line block ×3, first 2 shown]
	v_and_b32_e32 v62, 0xffff, v62
	v_lshlrev_b32_e32 v125, 2, v116
	global_load_dword v123, v123, s[8:9] offset:1400
	v_lshlrev_b32_e32 v126, 2, v117
	v_and_b32_e32 v120, 0xffff, v120
	v_sub_nc_u16 v124, v48, v124
	global_load_dword v125, v125, s[8:9] offset:1400
	v_sub_nc_u16 v59, v50, v59
	global_load_dword v126, v126, s[8:9] offset:1400
	v_sub_nc_u16 v121, v45, v121
	v_lshlrev_b32_e32 v127, 2, v62
	v_lshlrev_b32_e32 v128, 2, v120
	v_and_b32_e32 v124, 0xffff, v124
	v_and_b32_e32 v129, 0xffff, v59
	v_lshlrev_b32_sdwa v119, v119, v121 dst_sel:DWORD dst_unused:UNUSED_PAD src0_sel:DWORD src1_sel:WORD_0
	s_clause 0x1
	global_load_dword v127, v127, s[8:9] offset:1400
	global_load_dword v59, v128, s[8:9] offset:1400
	v_lshlrev_b32_e32 v128, 2, v124
	v_lshlrev_b32_e32 v130, 2, v129
	s_clause 0x2
	global_load_dword v119, v119, s[8:9] offset:1400
	global_load_dword v128, v128, s[8:9] offset:1400
	;; [unrolled: 1-line block ×3, first 2 shown]
	ds_read_u16 v131, v27 offset:2880
	ds_read_u16 v132, v27 offset:3072
	;; [unrolled: 1-line block ×7, first 2 shown]
	ds_read_u16 v138, v27
	ds_read_u16 v143, v27 offset:4800
	v_cmp_lt_u32_e64 s0, 0x47, v32
	v_mul_u32_u24_e32 v63, 0x5a0, v63
	s_waitcnt vmcnt(13) lgkmcnt(8)
	v_mul_f16_sdwa v139, v131, v111 dst_sel:DWORD dst_unused:UNUSED_PAD src0_sel:DWORD src1_sel:WORD_1
	v_mul_f16_sdwa v140, v110, v111 dst_sel:DWORD dst_unused:UNUSED_PAD src0_sel:DWORD src1_sel:WORD_1
	s_waitcnt vmcnt(11) lgkmcnt(7)
	v_mul_f16_sdwa v141, v132, v113 dst_sel:DWORD dst_unused:UNUSED_PAD src0_sel:DWORD src1_sel:WORD_1
	v_fma_f16 v110, v110, v111, -v139
	v_fmac_f16_e32 v140, v131, v111
	s_waitcnt lgkmcnt(6)
	v_mul_f16_sdwa v111, v133, v64 dst_sel:DWORD dst_unused:UNUSED_PAD src0_sel:DWORD src1_sel:WORD_1
	v_mul_f16_sdwa v139, v108, v113 dst_sel:DWORD dst_unused:UNUSED_PAD src0_sel:DWORD src1_sel:WORD_1
	;; [unrolled: 1-line block ×3, first 2 shown]
	v_fma_f16 v108, v108, v113, -v141
	ds_read_u16 v141, v27 offset:4608
	v_fma_f16 v106, v106, v64, -v111
	ds_read_u16 v111, v27 offset:4224
	v_fmac_f16_e32 v139, v132, v113
	v_fmac_f16_e32 v131, v133, v64
	ds_read_u16 v133, v27 offset:4416
	v_sub_f16_e32 v110, v95, v110
	v_sub_f16_e32 v108, v94, v108
	;; [unrolled: 1-line block ×3, first 2 shown]
	s_waitcnt vmcnt(9) lgkmcnt(8)
	v_mul_f16_sdwa v113, v134, v61 dst_sel:DWORD dst_unused:UNUSED_PAD src0_sel:DWORD src1_sel:WORD_1
	v_mul_f16_sdwa v132, v104, v61 dst_sel:DWORD dst_unused:UNUSED_PAD src0_sel:DWORD src1_sel:WORD_1
	s_waitcnt vmcnt(8) lgkmcnt(5)
	v_mul_f16_sdwa v142, v137, v122 dst_sel:DWORD dst_unused:UNUSED_PAD src0_sel:DWORD src1_sel:WORD_1
	v_fma_f16 v94, v94, 2.0, -v108
	v_fma_f16 v64, v104, v61, -v113
	v_fmac_f16_e32 v132, v134, v61
	v_mul_f16_sdwa v61, v135, v112 dst_sel:DWORD dst_unused:UNUSED_PAD src0_sel:DWORD src1_sel:WORD_1
	v_mul_f16_sdwa v104, v100, v112 dst_sel:DWORD dst_unused:UNUSED_PAD src0_sel:DWORD src1_sel:WORD_1
	;; [unrolled: 1-line block ×4, first 2 shown]
	v_sub_f16_e32 v64, v92, v64
	v_fma_f16 v61, v100, v112, -v61
	v_fmac_f16_e32 v104, v135, v112
	v_fma_f16 v99, v99, v114, -v113
	ds_read_u16 v112, v27 offset:4992
	ds_read_u16 v113, v27 offset:5184
	;; [unrolled: 1-line block ×4, first 2 shown]
	v_mul_f16_sdwa v100, v96, v122 dst_sel:DWORD dst_unused:UNUSED_PAD src0_sel:DWORD src1_sel:WORD_1
	v_fmac_f16_e32 v134, v136, v114
	v_fma_f16 v96, v96, v122, -v142
	v_sub_f16_e32 v61, v91, v61
	v_fma_f16 v92, v92, 2.0, -v64
	v_fmac_f16_e32 v100, v137, v122
	v_fma_f16 v91, v91, 2.0, -v61
	s_waitcnt vmcnt(7) lgkmcnt(5)
	v_mul_f16_sdwa v145, v111, v123 dst_sel:DWORD dst_unused:UNUSED_PAD src0_sel:DWORD src1_sel:WORD_1
	v_mul_f16_sdwa v146, v109, v123 dst_sel:DWORD dst_unused:UNUSED_PAD src0_sel:DWORD src1_sel:WORD_1
	s_waitcnt vmcnt(6)
	v_mul_f16_sdwa v114, v107, v125 dst_sel:DWORD dst_unused:UNUSED_PAD src0_sel:DWORD src1_sel:WORD_1
	v_fma_f16 v109, v109, v123, -v145
	v_fmac_f16_e32 v146, v111, v123
	s_waitcnt vmcnt(5)
	v_mul_f16_sdwa v122, v141, v126 dst_sel:DWORD dst_unused:UNUSED_PAD src0_sel:DWORD src1_sel:WORD_1
	v_mul_f16_sdwa v123, v105, v126 dst_sel:DWORD dst_unused:UNUSED_PAD src0_sel:DWORD src1_sel:WORD_1
	s_waitcnt lgkmcnt(4)
	v_mul_f16_sdwa v111, v133, v125 dst_sel:DWORD dst_unused:UNUSED_PAD src0_sel:DWORD src1_sel:WORD_1
	v_fmac_f16_e32 v114, v133, v125
	v_fma_f16 v105, v105, v126, -v122
	v_fmac_f16_e32 v123, v141, v126
	s_waitcnt vmcnt(3) lgkmcnt(2)
	v_mul_f16_sdwa v126, v113, v59 dst_sel:DWORD dst_unused:UNUSED_PAD src0_sel:DWORD src1_sel:WORD_1
	v_mul_f16_sdwa v133, v101, v59 dst_sel:DWORD dst_unused:UNUSED_PAD src0_sel:DWORD src1_sel:WORD_1
	;; [unrolled: 1-line block ×3, first 2 shown]
	v_fma_f16 v107, v107, v125, -v111
	s_waitcnt vmcnt(2)
	v_mul_f16_sdwa v122, v112, v119 dst_sel:DWORD dst_unused:UNUSED_PAD src0_sel:DWORD src1_sel:WORD_1
	v_mul_f16_sdwa v125, v102, v119 dst_sel:DWORD dst_unused:UNUSED_PAD src0_sel:DWORD src1_sel:WORD_1
	v_fma_f16 v101, v101, v59, -v126
	v_fmac_f16_e32 v133, v113, v59
	s_waitcnt vmcnt(1) lgkmcnt(1)
	v_mul_f16_sdwa v59, v135, v128 dst_sel:DWORD dst_unused:UNUSED_PAD src0_sel:DWORD src1_sel:WORD_1
	v_fma_f16 v111, v103, v127, -v136
	v_mul_f16_sdwa v103, v103, v127 dst_sel:DWORD dst_unused:UNUSED_PAD src0_sel:DWORD src1_sel:WORD_1
	v_fma_f16 v102, v102, v119, -v122
	v_fmac_f16_e32 v125, v112, v119
	v_mul_f16_sdwa v112, v98, v128 dst_sel:DWORD dst_unused:UNUSED_PAD src0_sel:DWORD src1_sel:WORD_1
	s_waitcnt vmcnt(0) lgkmcnt(0)
	v_mul_f16_sdwa v113, v144, v130 dst_sel:DWORD dst_unused:UNUSED_PAD src0_sel:DWORD src1_sel:WORD_1
	v_mul_f16_sdwa v119, v97, v130 dst_sel:DWORD dst_unused:UNUSED_PAD src0_sel:DWORD src1_sel:WORD_1
	v_fma_f16 v98, v98, v128, -v59
	v_fma_f16 v59, v95, 2.0, -v110
	v_fmac_f16_e32 v103, v143, v127
	v_fmac_f16_e32 v112, v135, v128
	v_fma_f16 v97, v97, v130, -v113
	v_fmac_f16_e32 v119, v144, v130
	ds_read_u16 v95, v41
	ds_read_u16 v113, v47
	;; [unrolled: 1-line block ×14, first 2 shown]
	s_waitcnt lgkmcnt(0)
	s_barrier
	buffer_gl0_inv
	ds_write_b16 v27, v59
	ds_write_b16 v27, v110 offset:720
	ds_write_b16 v41, v94
	v_fma_f16 v59, v93, 2.0, -v106
	v_cndmask_b32_e64 v93, 0, 0x5a0, s0
	ds_write_b16 v41, v108 offset:720
	ds_write_b16 v47, v59
	ds_write_b16 v47, v106 offset:720
	v_add3_u32 v66, 0, v93, v66
	v_sub_f16_e32 v93, v87, v99
	v_lshl_add_u32 v59, v32, 1, 0
	v_lshl_add_u32 v99, v116, 1, 0
	v_sub_f16_e32 v106, v138, v140
	ds_write_b16 v66, v92
	v_sub_f16_e32 v92, v90, v96
	v_fma_f16 v87, v87, 2.0, -v93
	ds_write_b16 v66, v64 offset:720
	ds_write_b16 v59, v91 offset:1488
	;; [unrolled: 1-line block ×4, first 2 shown]
	v_lshlrev_b32_sdwa v64, v49, v115 dst_sel:DWORD dst_unused:UNUSED_PAD src0_sel:DWORD src1_sel:WORD_0
	v_sub_f16_e32 v87, v88, v109
	v_fma_f16 v61, v90, 2.0, -v92
	v_sub_f16_e32 v90, v89, v107
	ds_write_b16 v59, v93 offset:2400
	ds_write_b16 v59, v61 offset:1872
	v_add3_u32 v96, 0, v63, v64
	v_fma_f16 v61, v88, 2.0, -v87
	v_fma_f16 v63, v89, 2.0, -v90
	v_sub_f16_e32 v64, v68, v105
	ds_write_b16 v59, v92 offset:2592
	ds_write_b16 v96, v61
	ds_write_b16 v96, v87 offset:720
	ds_write_b16 v99, v63 offset:2880
	v_lshlrev_b32_sdwa v49, v49, v121 dst_sel:DWORD dst_unused:UNUSED_PAD src0_sel:DWORD src1_sel:WORD_0
	v_mul_u32_u24_e32 v63, 0x5a0, v118
	v_fma_f16 v61, v68, 2.0, -v64
	v_lshl_add_u32 v105, v117, 1, 0
	v_sub_f16_e32 v68, v18, v111
	v_sub_f16_e32 v87, v65, v97
	v_add3_u32 v107, 0, v63, v49
	v_sub_f16_e32 v49, v19, v102
	ds_write_b16 v105, v61 offset:2880
	v_sub_f16_e32 v61, v16, v101
	v_fma_f16 v18, v18, 2.0, -v68
	v_lshl_add_u32 v97, v62, 1, 0
	v_sub_f16_e32 v63, v17, v98
	v_fma_f16 v19, v19, 2.0, -v49
	ds_write_b16 v99, v90 offset:3600
	v_fma_f16 v16, v16, 2.0, -v61
	ds_write_b16 v105, v64 offset:3600
	ds_write_b16 v97, v18 offset:2880
	;; [unrolled: 1-line block ×3, first 2 shown]
	v_lshl_add_u32 v18, v120, 1, 0
	v_fma_f16 v17, v17, 2.0, -v63
	ds_write_b16 v107, v19
	v_lshl_add_u32 v19, v124, 1, 0
	v_fma_f16 v62, v65, 2.0, -v87
	v_lshl_add_u32 v98, v129, 1, 0
	ds_write_b16 v107, v49 offset:720
	ds_write_b16 v18, v16 offset:4320
	ds_write_b16 v18, v61 offset:5040
	ds_write_b16 v19, v17 offset:4320
	ds_write_b16 v19, v63 offset:5040
	ds_write_b16 v98, v62 offset:4320
	ds_write_b16 v98, v87 offset:5040
	v_sub_f16_e32 v16, v95, v139
	v_fma_f16 v108, v138, 2.0, -v106
	v_sub_f16_e32 v17, v113, v131
	s_waitcnt lgkmcnt(0)
	s_barrier
	v_fma_f16 v95, v95, 2.0, -v16
	buffer_gl0_inv
	ds_read_u16 v64, v25
	ds_read_u16 v94, v27
	ds_read_u16 v101, v27 offset:2880
	ds_read_u16 v102, v27 offset:3072
	;; [unrolled: 1-line block ×7, first 2 shown]
	ds_read_u16 v65, v8
	ds_read_u16 v68, v9
	ds_read_u16 v87, v10
	ds_read_u16 v88, v11
	ds_read_u16 v90, v86
	ds_read_u16 v91, v31
	ds_read_u16 v89, v29
	ds_read_u16 v49, v12
	ds_read_u16 v61, v13
	ds_read_u16 v62, v14
	ds_read_u16 v92, v47
	ds_read_u16 v93, v41
	ds_read_u16 v63, v15
	ds_read_u16 v117, v27 offset:4224
	ds_read_u16 v118, v27 offset:4416
	;; [unrolled: 1-line block ×8, first 2 shown]
	s_waitcnt lgkmcnt(0)
	s_barrier
	buffer_gl0_inv
	ds_write_b16 v27, v108
	ds_write_b16 v27, v106 offset:720
	v_sub_f16_e32 v106, v136, v132
	v_fma_f16 v108, v113, 2.0, -v17
	ds_write_b16 v41, v95
	v_sub_f16_e32 v95, v135, v104
	ds_write_b16 v41, v16 offset:720
	v_fma_f16 v16, v136, 2.0, -v106
	ds_write_b16 v47, v108
	ds_write_b16 v47, v17 offset:720
	v_sub_f16_e32 v104, v122, v134
	v_fma_f16 v17, v135, 2.0, -v95
	ds_write_b16 v66, v16
	ds_write_b16 v66, v106 offset:720
	v_sub_f16_e32 v16, v126, v100
	v_sub_f16_e32 v66, v127, v146
	ds_write_b16 v59, v17 offset:1488
	v_fma_f16 v17, v122, 2.0, -v104
	ds_write_b16 v59, v95 offset:2208
	v_fma_f16 v95, v126, 2.0, -v16
	v_sub_f16_e32 v100, v128, v114
	ds_write_b16 v59, v17 offset:1680
	ds_write_b16 v59, v104 offset:2400
	v_fma_f16 v17, v127, 2.0, -v66
	ds_write_b16 v59, v95 offset:1872
	v_fma_f16 v95, v128, 2.0, -v100
	v_sub_f16_e32 v104, v130, v123
	ds_write_b16 v59, v16 offset:2592
	ds_write_b16 v96, v17
	ds_write_b16 v96, v66 offset:720
	ds_write_b16 v99, v95 offset:2880
	v_sub_f16_e32 v17, v137, v103
	v_sub_f16_e32 v66, v141, v125
	;; [unrolled: 1-line block ×5, first 2 shown]
	v_fma_f16 v16, v130, 2.0, -v104
	v_fma_f16 v106, v137, 2.0, -v17
	;; [unrolled: 1-line block ×6, first 2 shown]
	ds_write_b16 v99, v100 offset:3600
	ds_write_b16 v105, v16 offset:2880
	;; [unrolled: 1-line block ×5, first 2 shown]
	ds_write_b16 v107, v108
	ds_write_b16 v107, v66 offset:720
	ds_write_b16 v18, v112 offset:4320
	;; [unrolled: 1-line block ×7, first 2 shown]
	v_add_co_u32 v95, s0, 0x800, v2
	v_lshlrev_b64 v[16:17], 2, v[57:58]
	v_add_co_ci_u32_e64 v96, s0, 0, v3, s0
	v_add_co_u32 v57, s0, 0x800, v0
	v_lshlrev_b64 v[18:19], 2, v[55:56]
	v_add_co_ci_u32_e64 v58, s0, 0, v1, s0
	v_add_co_u32 v16, s0, s8, v16
	v_add_co_ci_u32_e64 v17, s0, s9, v17, s0
	v_add_co_u32 v18, s0, s8, v18
	;; [unrolled: 2-line block ×5, first 2 shown]
	v_add_co_ci_u32_e64 v54, s0, s9, v54, s0
	s_waitcnt lgkmcnt(0)
	s_barrier
	buffer_gl0_inv
	s_clause 0x4
	global_load_dword v99, v[6:7], off offset:792
	global_load_dword v100, v[95:96], off offset:792
	;; [unrolled: 1-line block ×5, first 2 shown]
	v_subrev_nc_u32_e32 v57, 48, v32
	v_cmp_gt_u32_e64 s0, 48, v32
	v_lshlrev_b64 v[55:56], 2, v[51:52]
	v_cndmask_b32_e64 v66, v57, v40, s0
	v_add_co_u32 v57, s0, 0x800, v53
	v_add_co_ci_u32_e64 v58, s0, 0, v54, s0
	v_lshlrev_b64 v[95:96], 2, v[66:67]
	v_add_co_u32 v52, s0, s8, v55
	v_add_co_ci_u32_e64 v55, s0, s9, v56, s0
	v_add_co_u32 v51, s0, s8, v95
	v_add_co_ci_u32_e64 v56, s0, s9, v96, s0
	;; [unrolled: 2-line block ×4, first 2 shown]
	s_clause 0x1
	global_load_dword v51, v[57:58], off offset:792
	global_load_dword v58, v[95:96], off offset:792
	v_add_nc_u32_e32 v56, 0x210, v32
	v_mov_b32_e32 v57, v67
	s_clause 0x3
	global_load_dword v95, v[97:98], off offset:792
	global_load_dword v96, v[6:7], off offset:984
	global_load_dword v97, v[6:7], off offset:1368
	global_load_dword v98, v[6:7], off offset:1752
	v_add_co_u32 v4, s0, 0x1000, v4
	v_add_co_ci_u32_e64 v5, s0, 0, v5, s0
	v_lshlrev_b64 v[6:7], 2, v[56:57]
	v_add_nc_u32_e32 v56, 0x270, v32
	global_load_dword v108, v[4:5], off offset:88
	v_add_co_u32 v106, s0, s8, v6
	v_add_co_ci_u32_e64 v107, s0, s9, v7, s0
	v_lshlrev_b64 v[6:7], 2, v[56:57]
	v_add_co_u32 v56, s0, 0x800, v106
	v_add_co_ci_u32_e64 v57, s0, 0, v107, s0
	s_clause 0x1
	global_load_dword v106, v[4:5], off offset:472
	global_load_dword v56, v[56:57], off offset:792
	v_add_co_u32 v6, s0, s8, v6
	v_add_co_ci_u32_e64 v7, s0, s9, v7, s0
	v_add_co_u32 v6, s0, 0x800, v6
	v_add_co_ci_u32_e64 v7, s0, 0, v7, s0
	v_cmp_lt_u32_e64 s0, 47, v32
	global_load_dword v6, v[6:7], off offset:792
	ds_read_u16 v7, v27 offset:2880
	ds_read_u16 v57, v27 offset:3072
	;; [unrolled: 1-line block ×7, first 2 shown]
	ds_read_u16 v122, v27
	s_waitcnt vmcnt(13)
	v_mul_f16_sdwa v126, v102, v100 dst_sel:DWORD dst_unused:UNUSED_PAD src0_sel:DWORD src1_sel:WORD_1
	s_waitcnt vmcnt(12)
	v_mul_f16_sdwa v128, v109, v103 dst_sel:DWORD dst_unused:UNUSED_PAD src0_sel:DWORD src1_sel:WORD_1
	s_waitcnt lgkmcnt(7)
	v_mul_f16_sdwa v123, v7, v99 dst_sel:DWORD dst_unused:UNUSED_PAD src0_sel:DWORD src1_sel:WORD_1
	v_mul_f16_sdwa v125, v101, v99 dst_sel:DWORD dst_unused:UNUSED_PAD src0_sel:DWORD src1_sel:WORD_1
	s_waitcnt lgkmcnt(5)
	v_mul_f16_sdwa v127, v107, v103 dst_sel:DWORD dst_unused:UNUSED_PAD src0_sel:DWORD src1_sel:WORD_1
	v_fmac_f16_e32 v126, v57, v100
	v_fmac_f16_e32 v128, v107, v103
	v_fma_f16 v101, v101, v99, -v123
	v_mul_f16_sdwa v123, v57, v100 dst_sel:DWORD dst_unused:UNUSED_PAD src0_sel:DWORD src1_sel:WORD_1
	v_fmac_f16_e32 v125, v7, v99
	s_waitcnt vmcnt(11) lgkmcnt(4)
	v_mul_f16_sdwa v99, v112, v104 dst_sel:DWORD dst_unused:UNUSED_PAD src0_sel:DWORD src1_sel:WORD_1
	v_mul_f16_sdwa v107, v110, v104 dst_sel:DWORD dst_unused:UNUSED_PAD src0_sel:DWORD src1_sel:WORD_1
	v_fma_f16 v57, v109, v103, -v127
	v_fma_f16 v7, v102, v100, -v123
	ds_read_u16 v102, v27 offset:4224
	ds_read_u16 v103, v27 offset:4416
	s_waitcnt vmcnt(10) lgkmcnt(5)
	v_mul_f16_sdwa v100, v113, v105 dst_sel:DWORD dst_unused:UNUSED_PAD src0_sel:DWORD src1_sel:WORD_1
	v_fma_f16 v99, v110, v104, -v99
	v_mul_f16_sdwa v109, v111, v105 dst_sel:DWORD dst_unused:UNUSED_PAD src0_sel:DWORD src1_sel:WORD_1
	v_fmac_f16_e32 v107, v112, v104
	ds_read_u16 v104, v27 offset:4608
	v_fma_f16 v100, v111, v105, -v100
	v_sub_f16_e32 v101, v94, v101
	v_fmac_f16_e32 v109, v113, v105
	ds_read_u16 v113, v27 offset:4800
	v_sub_f16_e32 v57, v92, v57
	v_sub_f16_e32 v7, v93, v7
	s_waitcnt lgkmcnt(4)
	v_sub_f16_e32 v125, v122, v125
	v_fma_f16 v93, v93, 2.0, -v7
	s_waitcnt vmcnt(9)
	v_mul_f16_sdwa v105, v114, v51 dst_sel:DWORD dst_unused:UNUSED_PAD src0_sel:DWORD src1_sel:WORD_1
	v_mul_f16_sdwa v110, v115, v51 dst_sel:DWORD dst_unused:UNUSED_PAD src0_sel:DWORD src1_sel:WORD_1
	s_waitcnt vmcnt(8)
	v_mul_f16_sdwa v111, v119, v58 dst_sel:DWORD dst_unused:UNUSED_PAD src0_sel:DWORD src1_sel:WORD_1
	v_mul_f16_sdwa v112, v116, v58 dst_sel:DWORD dst_unused:UNUSED_PAD src0_sel:DWORD src1_sel:WORD_1
	s_waitcnt vmcnt(6)
	v_mul_f16_sdwa v127, v118, v96 dst_sel:DWORD dst_unused:UNUSED_PAD src0_sel:DWORD src1_sel:WORD_1
	v_fma_f16 v105, v115, v51, -v105
	ds_read_u16 v115, v27 offset:4992
	v_fmac_f16_e32 v110, v114, v51
	v_fma_f16 v51, v116, v58, -v111
	ds_read_u16 v111, v27 offset:5184
	ds_read_u16 v114, v27 offset:5376
	;; [unrolled: 1-line block ×3, first 2 shown]
	s_waitcnt lgkmcnt(7)
	v_mul_f16_sdwa v123, v102, v95 dst_sel:DWORD dst_unused:UNUSED_PAD src0_sel:DWORD src1_sel:WORD_1
	v_fmac_f16_e32 v112, v119, v58
	v_mul_f16_sdwa v119, v117, v95 dst_sel:DWORD dst_unused:UNUSED_PAD src0_sel:DWORD src1_sel:WORD_1
	s_waitcnt lgkmcnt(6)
	v_mul_f16_sdwa v58, v103, v96 dst_sel:DWORD dst_unused:UNUSED_PAD src0_sel:DWORD src1_sel:WORD_1
	v_fmac_f16_e32 v127, v103, v96
	v_fma_f16 v117, v117, v95, -v123
	s_waitcnt vmcnt(5) lgkmcnt(5)
	v_mul_f16_sdwa v123, v104, v97 dst_sel:DWORD dst_unused:UNUSED_PAD src0_sel:DWORD src1_sel:WORD_1
	v_fmac_f16_e32 v119, v102, v95
	v_fma_f16 v58, v118, v96, -v58
	v_mul_f16_sdwa v118, v120, v97 dst_sel:DWORD dst_unused:UNUSED_PAD src0_sel:DWORD src1_sel:WORD_1
	s_waitcnt vmcnt(4) lgkmcnt(4)
	v_mul_f16_sdwa v96, v113, v98 dst_sel:DWORD dst_unused:UNUSED_PAD src0_sel:DWORD src1_sel:WORD_1
	v_fma_f16 v95, v120, v97, -v123
	v_mul_f16_sdwa v120, v121, v98 dst_sel:DWORD dst_unused:UNUSED_PAD src0_sel:DWORD src1_sel:WORD_1
	s_waitcnt vmcnt(3)
	v_mul_f16_sdwa v123, v124, v108 dst_sel:DWORD dst_unused:UNUSED_PAD src0_sel:DWORD src1_sel:WORD_1
	v_fmac_f16_e32 v118, v104, v97
	v_fma_f16 v96, v121, v98, -v96
	s_waitcnt lgkmcnt(3)
	v_mul_f16_sdwa v102, v115, v108 dst_sel:DWORD dst_unused:UNUSED_PAD src0_sel:DWORD src1_sel:WORD_1
	v_fmac_f16_e32 v120, v113, v98
	s_waitcnt vmcnt(2) lgkmcnt(2)
	v_mul_f16_sdwa v97, v111, v106 dst_sel:DWORD dst_unused:UNUSED_PAD src0_sel:DWORD src1_sel:WORD_1
	v_mul_f16_sdwa v113, v129, v106 dst_sel:DWORD dst_unused:UNUSED_PAD src0_sel:DWORD src1_sel:WORD_1
	v_fmac_f16_e32 v123, v115, v108
	v_fma_f16 v98, v124, v108, -v102
	s_waitcnt vmcnt(1) lgkmcnt(1)
	v_mul_f16_sdwa v102, v114, v56 dst_sel:DWORD dst_unused:UNUSED_PAD src0_sel:DWORD src1_sel:WORD_1
	v_fma_f16 v97, v129, v106, -v97
	v_fmac_f16_e32 v113, v111, v106
	v_mul_f16_sdwa v106, v138, v56 dst_sel:DWORD dst_unused:UNUSED_PAD src0_sel:DWORD src1_sel:WORD_1
	ds_read_u16 v111, v25
	v_fma_f16 v102, v138, v56, -v102
	v_sub_f16_e32 v51, v65, v51
	s_waitcnt vmcnt(0) lgkmcnt(1)
	v_mul_f16_sdwa v103, v116, v6 dst_sel:DWORD dst_unused:UNUSED_PAD src0_sel:DWORD src1_sel:WORD_1
	v_mul_f16_sdwa v108, v140, v6 dst_sel:DWORD dst_unused:UNUSED_PAD src0_sel:DWORD src1_sel:WORD_1
	v_fmac_f16_e32 v106, v114, v56
	v_sub_f16_e32 v58, v87, v58
	v_fma_f16 v65, v65, 2.0, -v51
	v_fma_f16 v56, v140, v6, -v103
	v_fmac_f16_e32 v108, v116, v6
	v_fma_f16 v6, v94, 2.0, -v101
	ds_read_u16 v114, v8
	ds_read_u16 v115, v9
	;; [unrolled: 1-line block ×13, first 2 shown]
	s_waitcnt lgkmcnt(0)
	s_barrier
	buffer_gl0_inv
	ds_write_b16 v27, v6
	v_fma_f16 v6, v92, 2.0, -v57
	v_sub_f16_e32 v92, v91, v99
	ds_write_b16 v27, v101 offset:1440
	ds_write_b16 v41, v93
	ds_write_b16 v41, v7 offset:1440
	ds_write_b16 v47, v6
	v_sub_f16_e32 v7, v90, v100
	ds_write_b16 v47, v57 offset:1440
	v_sub_f16_e32 v57, v64, v105
	v_fma_f16 v6, v91, 2.0, -v92
	ds_write_b16 v31, v6
	ds_write_b16 v31, v92 offset:1440
	v_fma_f16 v6, v90, 2.0, -v7
	v_sub_f16_e32 v90, v68, v117
	v_sub_f16_e32 v91, v88, v95
	;; [unrolled: 1-line block ×6, first 2 shown]
	ds_write_b16 v86, v6
	ds_write_b16 v86, v7 offset:1440
	v_cndmask_b32_e64 v6, 0, 0xb40, s0
	v_lshlrev_b32_e32 v7, 1, v66
	v_fma_f16 v64, v64, 2.0, -v57
	v_sub_f16_e32 v93, v49, v98
	v_fma_f16 v68, v68, 2.0, -v90
	v_fma_f16 v87, v87, 2.0, -v58
	;; [unrolled: 1-line block ×7, first 2 shown]
	v_add3_u32 v117, 0, v6, v7
	v_fma_f16 v49, v49, 2.0, -v93
	ds_write_b16 v25, v64
	ds_write_b16 v25, v57 offset:1440
	ds_write_b16 v8, v65
	ds_write_b16 v8, v51 offset:1440
	;; [unrolled: 2-line block ×3, first 2 shown]
	ds_write_b16 v59, v87 offset:2976
	ds_write_b16 v59, v58 offset:4416
	;; [unrolled: 1-line block ×14, first 2 shown]
	s_waitcnt lgkmcnt(0)
	s_barrier
	buffer_gl0_inv
	ds_read_u16 v6, v25
	ds_read_u16 v7, v27
	ds_read_u16 v89, v27 offset:2880
	ds_read_u16 v104, v27 offset:3072
	;; [unrolled: 1-line block ×7, first 2 shown]
	ds_read_u16 v56, v8
	ds_read_u16 v61, v9
	;; [unrolled: 1-line block ×13, first 2 shown]
	ds_read_u16 v95, v27 offset:4224
	ds_read_u16 v96, v27 offset:4416
	;; [unrolled: 1-line block ×8, first 2 shown]
	v_sub_f16_e32 v49, v135, v126
	v_fma_f16 v105, v122, 2.0, -v125
	v_sub_f16_e32 v51, v134, v128
	v_sub_f16_e32 v107, v129, v107
	s_waitcnt lgkmcnt(0)
	v_fma_f16 v122, v135, 2.0, -v49
	s_barrier
	buffer_gl0_inv
	ds_write_b16 v27, v105
	ds_write_b16 v27, v125 offset:1440
	v_fma_f16 v105, v134, 2.0, -v51
	ds_write_b16 v41, v122
	v_fma_f16 v122, v129, 2.0, -v107
	v_sub_f16_e32 v109, v124, v109
	ds_write_b16 v41, v49 offset:1440
	ds_write_b16 v47, v105
	ds_write_b16 v47, v51 offset:1440
	ds_write_b16 v31, v122
	v_sub_f16_e32 v47, v111, v110
	v_sub_f16_e32 v49, v114, v112
	;; [unrolled: 1-line block ×10, first 2 shown]
	v_fma_f16 v41, v124, 2.0, -v109
	v_fma_f16 v111, v111, 2.0, -v47
	;; [unrolled: 1-line block ×11, first 2 shown]
	ds_write_b16 v31, v107 offset:1440
	ds_write_b16 v86, v41
	ds_write_b16 v86, v109 offset:1440
	ds_write_b16 v25, v111
	;; [unrolled: 2-line block ×4, first 2 shown]
	ds_write_b16 v117, v51 offset:1440
	ds_write_b16 v59, v115 offset:2976
	;; [unrolled: 1-line block ×15, first 2 shown]
	s_waitcnt lgkmcnt(0)
	s_barrier
	buffer_gl0_inv
	s_and_saveexec_b32 s0, vcc_lo
	s_cbranch_execz .LBB0_15
; %bb.14:
	v_mov_b32_e32 v51, v67
	v_mov_b32_e32 v49, v67
	;; [unrolled: 1-line block ×3, first 2 shown]
	v_mul_i32_i24_e32 v36, 0xffffffee, v36
	v_mul_i32_i24_e32 v38, 0xffffffee, v38
	v_lshlrev_b64 v[50:51], 2, v[50:51]
	v_lshlrev_b64 v[48:49], 2, v[48:49]
	v_add_nc_u32_e32 v23, v23, v36
	v_add_nc_u32_e32 v21, v21, v38
	v_add_co_u32 v41, vcc_lo, s8, v50
	v_add_co_ci_u32_e32 v50, vcc_lo, s9, v51, vcc_lo
	v_add_co_u32 v59, vcc_lo, s8, v48
	v_add_co_ci_u32_e32 v106, vcc_lo, s9, v49, vcc_lo
	;; [unrolled: 2-line block ×3, first 2 shown]
	v_lshlrev_b64 v[50:51], 2, v[46:47]
	v_add_co_u32 v105, vcc_lo, 0x1000, v59
	v_mov_b32_e32 v46, v67
	v_add_co_ci_u32_e32 v106, vcc_lo, 0, v106, vcc_lo
	v_add_co_u32 v41, vcc_lo, s8, v50
	v_add_co_ci_u32_e32 v51, vcc_lo, s9, v51, vcc_lo
	v_lshlrev_b64 v[46:47], 2, v[45:46]
	v_add_co_u32 v50, vcc_lo, 0x1000, v41
	v_mov_b32_e32 v45, v67
	v_add_co_ci_u32_e32 v51, vcc_lo, 0, v51, vcc_lo
	v_add_co_u32 v41, vcc_lo, s8, v46
	v_add_co_ci_u32_e32 v47, vcc_lo, s9, v47, vcc_lo
	v_lshlrev_b64 v[45:46], 2, v[44:45]
	v_add_co_u32 v107, vcc_lo, 0x1000, v41
	v_mov_b32_e32 v44, v67
	v_add_co_ci_u32_e32 v108, vcc_lo, 0, v47, vcc_lo
	v_add_co_u32 v41, vcc_lo, s8, v45
	v_add_co_ci_u32_e32 v46, vcc_lo, s9, v46, vcc_lo
	v_lshlrev_b64 v[43:44], 2, v[43:44]
	v_add_co_u32 v45, vcc_lo, 0x1000, v41
	v_add_co_ci_u32_e32 v46, vcc_lo, 0, v46, vcc_lo
	v_mov_b32_e32 v41, v67
	v_add_co_u32 v47, vcc_lo, s8, v43
	v_mov_b32_e32 v43, v67
	v_add_co_ci_u32_e32 v44, vcc_lo, s9, v44, vcc_lo
	v_add_co_u32 v109, vcc_lo, 0x1000, v47
	v_lshlrev_b64 v[42:43], 2, v[42:43]
	v_add_co_ci_u32_e32 v110, vcc_lo, 0, v44, vcc_lo
	v_lshlrev_b64 v[40:41], 2, v[40:41]
	v_add_co_u32 v2, vcc_lo, 0x1000, v2
	v_add_co_ci_u32_e32 v3, vcc_lo, 0, v3, vcc_lo
	v_add_co_u32 v42, vcc_lo, s8, v42
	v_add_co_ci_u32_e32 v43, vcc_lo, s9, v43, vcc_lo
	;; [unrolled: 2-line block ×3, first 2 shown]
	global_load_dword v44, v[2:3], off offset:1624
	v_add_co_u32 v2, vcc_lo, 0x1000, v42
	v_add_co_ci_u32_e32 v3, vcc_lo, 0, v43, vcc_lo
	v_add_co_u32 v40, vcc_lo, 0x1000, v40
	v_add_co_ci_u32_e32 v41, vcc_lo, 0, v41, vcc_lo
	;; [unrolled: 2-line block ×4, first 2 shown]
	s_clause 0x9
	global_load_dword v47, v[48:49], off offset:1624
	global_load_dword v48, v[105:106], off offset:1624
	;; [unrolled: 1-line block ×10, first 2 shown]
	v_add_co_u32 v2, vcc_lo, 0x1000, v18
	v_add_co_ci_u32_e32 v3, vcc_lo, 0, v19, vcc_lo
	v_add_co_u32 v16, vcc_lo, 0x1000, v16
	v_add_co_ci_u32_e32 v17, vcc_lo, 0, v17, vcc_lo
	;; [unrolled: 2-line block ×3, first 2 shown]
	s_clause 0x3
	global_load_dword v43, v[2:3], off offset:1624
	global_load_dword v52, v[16:17], off offset:1624
	;; [unrolled: 1-line block ×4, first 2 shown]
	ds_read_u16 v55, v15
	ds_read_u16 v59, v14
	;; [unrolled: 1-line block ×4, first 2 shown]
	ds_read_u16 v106, v27 offset:5568
	ds_read_u16 v107, v27 offset:5376
	;; [unrolled: 1-line block ×8, first 2 shown]
	ds_read_u16 v114, v11
	ds_read_u16 v115, v10
	;; [unrolled: 1-line block ×8, first 2 shown]
	ds_read_u16 v121, v27 offset:4032
	ds_read_u16 v122, v27 offset:3840
	;; [unrolled: 1-line block ×7, first 2 shown]
	ds_read_u16 v128, v27
	v_mul_lo_u32 v25, s3, v32
	v_mul_lo_u32 v27, s2, v33
	v_mad_u64_u32 v[2:3], null, s2, v32, 0
	v_mad_u64_u32 v[4:5], null, s2, v83, 0
	;; [unrolled: 1-line block ×7, first 2 shown]
	v_add_co_u32 v0, vcc_lo, s12, v34
	v_add3_u32 v3, v3, v27, v25
	v_mad_u64_u32 v[33:34], null, s3, v83, v[5:6]
	v_mad_u64_u32 v[27:28], null, s3, v28, v[9:10]
	v_lshlrev_b64 v[2:3], 2, v[2:3]
	v_add_co_ci_u32_e32 v1, vcc_lo, s13, v35, vcc_lo
	v_mad_u64_u32 v[28:29], null, s3, v84, v[11:12]
	v_mad_u64_u32 v[25:26], null, s3, v26, v[13:14]
	;; [unrolled: 1-line block ×3, first 2 shown]
	v_mov_b32_e32 v5, v33
	ds_read_u16 v23, v23
	ds_read_u16 v21, v21
	v_mad_u64_u32 v[18:19], null, s2, v82, 0
	v_add_co_u32 v35, vcc_lo, v0, v2
	v_mov_b32_e32 v9, v27
	v_add_co_ci_u32_e32 v36, vcc_lo, v1, v3, vcc_lo
	v_lshlrev_b64 v[2:3], 2, v[4:5]
	v_mov_b32_e32 v11, v28
	v_mov_b32_e32 v13, v25
	;; [unrolled: 1-line block ×3, first 2 shown]
	v_lshlrev_b64 v[4:5], 2, v[8:9]
	v_mad_u64_u32 v[29:30], null, s3, v30, v[17:18]
	v_lshlrev_b64 v[8:9], 2, v[10:11]
	v_lshlrev_b64 v[10:11], 2, v[12:13]
	;; [unrolled: 1-line block ×3, first 2 shown]
	v_add_co_u32 v14, vcc_lo, v0, v2
	v_add_co_ci_u32_e32 v15, vcc_lo, v1, v3, vcc_lo
	v_add_co_u32 v3, vcc_lo, v0, v4
	v_add_co_ci_u32_e32 v4, vcc_lo, v1, v5, vcc_lo
	v_mad_u64_u32 v[31:32], null, s2, v24, 0
	v_add_co_u32 v8, vcc_lo, v0, v8
	v_add_co_ci_u32_e32 v9, vcc_lo, v1, v9, vcc_lo
	v_add_co_u32 v10, vcc_lo, v0, v10
	v_add_co_ci_u32_e32 v11, vcc_lo, v1, v11, vcc_lo
	s_waitcnt vmcnt(14)
	v_lshrrev_b32_e32 v2, 16, v44
	s_waitcnt lgkmcnt(4)
	v_mul_f16_e32 v17, v44, v126
	v_mul_f16_e32 v5, v2, v126
	v_fmac_f16_e32 v17, v104, v2
	s_waitcnt vmcnt(13)
	v_mul_f16_e32 v25, v47, v106
	s_waitcnt vmcnt(12)
	v_lshrrev_b32_e32 v26, 16, v48
	v_fma_f16 v2, v104, v44, -v5
	s_waitcnt lgkmcnt(0)
	v_sub_f16_e32 v5, v21, v17
	v_mul_f16_e32 v27, v48, v107
	s_waitcnt vmcnt(11)
	v_lshrrev_b32_e32 v28, 16, v49
	v_mul_f16_e32 v30, v49, v108
	v_sub_f16_e32 v2, v103, v2
	v_fma_f16 v17, v21, 2.0, -v5
	v_lshrrev_b32_e32 v21, 16, v47
	s_waitcnt vmcnt(10)
	v_lshrrev_b32_e32 v33, 16, v50
	v_mul_f16_e32 v34, v50, v109
	s_waitcnt vmcnt(9)
	v_lshrrev_b32_e32 v38, 16, v45
	s_waitcnt vmcnt(8)
	v_lshrrev_b32_e32 v83, 16, v46
	v_mul_f16_e32 v84, v46, v111
	s_waitcnt vmcnt(6)
	v_lshrrev_b32_e32 v126, 16, v40
	s_waitcnt vmcnt(4)
	v_lshrrev_b32_e32 v132, 16, v42
	v_mul_f16_e32 v44, v45, v110
	v_lshrrev_b32_e32 v85, 16, v51
	v_mul_f16_e32 v104, v51, v112
	v_lshrrev_b32_e32 v130, 16, v41
	v_fma_f16 v103, v103, 2.0, -v2
	s_waitcnt vmcnt(1)
	v_lshrrev_b32_e32 v138, 16, v53
	v_mul_f16_e32 v139, v53, v125
	s_waitcnt vmcnt(0)
	v_lshrrev_b32_e32 v140, 16, v54
	v_mul_f16_e32 v141, v54, v127
	v_pack_b32_f16 v142, v2, v5
	v_mul_f16_e32 v2, v21, v106
	v_fmac_f16_e32 v25, v102, v21
	v_mul_f16_e32 v5, v26, v107
	v_fmac_f16_e32 v27, v101, v26
	v_mul_f16_e32 v21, v28, v108
	v_fmac_f16_e32 v30, v100, v28
	v_mul_f16_e32 v26, v33, v109
	v_fmac_f16_e32 v34, v99, v33
	v_mul_f16_e32 v28, v38, v110
	v_mul_f16_e32 v33, v83, v111
	v_fmac_f16_e32 v84, v97, v83
	v_mul_f16_e32 v83, v126, v113
	v_fmac_f16_e32 v139, v90, v138
	v_mul_f16_e32 v110, v140, v127
	v_lshrrev_b32_e32 v134, 16, v43
	v_mul_f16_e32 v106, v132, v122
	v_mul_f16_e32 v109, v138, v125
	;; [unrolled: 1-line block ×3, first 2 shown]
	v_fmac_f16_e32 v44, v98, v38
	v_mul_f16_e32 v38, v85, v112
	v_fmac_f16_e32 v104, v96, v85
	v_mul_f16_e32 v85, v130, v121
	v_fmac_f16_e32 v141, v89, v140
	v_fma_f16 v5, v101, v48, -v5
	v_fma_f16 v40, v95, v40, -v83
	v_sub_f16_e32 v83, v23, v139
	v_fma_f16 v54, v89, v54, -v110
	v_mul_f16_e32 v133, v42, v122
	v_mul_f16_e32 v107, v134, v123
	v_fma_f16 v42, v93, v42, -v106
	v_fma_f16 v53, v90, v53, -v109
	v_mul_f16_e32 v131, v41, v121
	v_fma_f16 v47, v102, v47, -v2
	v_sub_f16_e32 v2, v55, v25
	v_sub_f16_e32 v25, v59, v27
	v_sub_f16_e32 v27, v67, v30
	v_sub_f16_e32 v30, v105, v34
	v_sub_f16_e32 v34, v119, v44
	v_sub_f16_e32 v44, v114, v84
	v_fma_f16 v41, v94, v41, -v85
	v_sub_f16_e32 v84, v128, v141
	v_sub_f16_e32 v85, v87, v5
	v_fma_f16 v5, v23, 2.0, -v83
	v_sub_f16_e32 v23, v7, v54
	v_mul_f16_e32 v135, v43, v123
	v_fma_f16 v43, v92, v43, -v107
	v_sub_f16_e32 v42, v6, v42
	v_sub_f16_e32 v53, v64, v53
	v_fma_f16 v54, v128, 2.0, -v84
	v_fma_f16 v7, v7, 2.0, -v23
	v_fma_f16 v33, v97, v46, -v33
	v_sub_f16_e32 v43, v58, v43
	v_fma_f16 v97, v6, 2.0, -v42
	v_fma_f16 v6, v64, 2.0, -v53
	v_pack_b32_f16 v7, v7, v54
	v_pack_b32_f16 v23, v23, v84
	;; [unrolled: 1-line block ×3, first 2 shown]
	v_fma_f16 v54, v58, 2.0, -v43
	v_pack_b32_f16 v58, v6, v5
	v_mad_u64_u32 v[5:6], null, s3, v82, v[19:20]
	global_store_dword v[35:36], v7, off
	global_store_dword v[14:15], v23, off
	;; [unrolled: 1-line block ×3, first 2 shown]
	v_add_co_u32 v3, vcc_lo, v0, v12
	v_pack_b32_f16 v7, v53, v83
	v_mov_b32_e32 v6, v32
	v_add_co_ci_u32_e32 v4, vcc_lo, v1, v13, vcc_lo
	v_lshrrev_b32_e32 v136, 16, v52
	v_mov_b32_e32 v19, v5
	v_mad_u64_u32 v[5:6], null, s3, v24, v[6:7]
	global_store_dword v[8:9], v142, off
	global_store_dword v[10:11], v58, off
	;; [unrolled: 1-line block ×3, first 2 shown]
	v_mad_u64_u32 v[6:7], null, s2, v81, 0
	v_mul_f16_e32 v137, v52, v124
	v_mul_f16_e32 v108, v136, v124
	v_mov_b32_e32 v17, v29
	v_fmac_f16_e32 v135, v92, v134
	v_fma_f16 v38, v96, v51, -v38
	v_fmac_f16_e32 v137, v91, v136
	v_fma_f16 v51, v91, v52, -v108
	v_lshlrev_b64 v[3:4], 2, v[16:17]
	v_mov_b32_e32 v32, v5
	v_mov_b32_e32 v5, v7
	v_mad_u64_u32 v[10:11], null, s2, v22, 0
	v_lshlrev_b64 v[8:9], 2, v[18:19]
	v_fma_f16 v26, v99, v50, -v26
	v_sub_f16_e32 v50, v86, v135
	v_sub_f16_e32 v52, v118, v137
	;; [unrolled: 1-line block ×3, first 2 shown]
	v_add_co_u32 v3, vcc_lo, v0, v3
	v_lshlrev_b64 v[12:13], 2, v[31:32]
	v_mad_u64_u32 v[14:15], null, s3, v81, v[5:6]
	v_add_co_ci_u32_e32 v4, vcc_lo, v1, v4, vcc_lo
	v_fma_f16 v86, v86, 2.0, -v50
	v_fma_f16 v96, v118, 2.0, -v52
	;; [unrolled: 1-line block ×3, first 2 shown]
	v_add_co_u32 v8, vcc_lo, v0, v8
	v_mov_b32_e32 v5, v11
	v_add_co_ci_u32_e32 v9, vcc_lo, v1, v9, vcc_lo
	v_mad_u64_u32 v[15:16], null, s2, v80, 0
	v_add_co_u32 v11, vcc_lo, v0, v12
	v_pack_b32_f16 v23, v57, v96
	v_add_co_ci_u32_e32 v12, vcc_lo, v1, v13, vcc_lo
	v_mad_u64_u32 v[17:18], null, s3, v22, v[5:6]
	v_pack_b32_f16 v5, v54, v86
	v_mov_b32_e32 v7, v14
	v_pack_b32_f16 v19, v51, v52
	global_store_dword v[3:4], v23, off
	global_store_dword v[8:9], v19, off
	;; [unrolled: 1-line block ×3, first 2 shown]
	v_lshlrev_b64 v[4:5], 2, v[6:7]
	v_mov_b32_e32 v3, v16
	v_fmac_f16_e32 v133, v93, v132
	v_mov_b32_e32 v11, v17
	v_fma_f16 v21, v100, v49, -v21
	v_fmac_f16_e32 v129, v95, v126
	v_mad_u64_u32 v[6:7], null, s3, v80, v[3:4]
	v_mad_u64_u32 v[7:8], null, s2, v20, 0
	v_add_co_u32 v3, vcc_lo, v0, v4
	v_add_co_ci_u32_e32 v4, vcc_lo, v1, v5, vcc_lo
	v_sub_f16_e32 v49, v120, v133
	v_mov_b32_e32 v16, v6
	v_mov_b32_e32 v5, v8
	v_lshlrev_b64 v[9:10], 2, v[10:11]
	v_mad_u64_u32 v[11:12], null, s2, v79, 0
	v_fma_f16 v95, v120, 2.0, -v49
	v_mad_u64_u32 v[5:6], null, s3, v20, v[5:6]
	v_lshlrev_b64 v[13:14], 2, v[15:16]
	v_mad_u64_u32 v[15:16], null, s2, v77, 0
	v_add_co_u32 v9, vcc_lo, v0, v9
	v_pack_b32_f16 v19, v43, v50
	v_mov_b32_e32 v8, v5
	v_add_co_ci_u32_e32 v10, vcc_lo, v1, v10, vcc_lo
	v_pack_b32_f16 v22, v97, v95
	v_mov_b32_e32 v6, v12
	v_add_co_u32 v12, vcc_lo, v0, v13
	global_store_dword v[3:4], v19, off
	global_store_dword v[9:10], v22, off
	v_lshlrev_b64 v[4:5], 2, v[7:8]
	v_add_co_ci_u32_e32 v13, vcc_lo, v1, v14, vcc_lo
	v_mad_u64_u32 v[17:18], null, s3, v79, v[6:7]
	v_pack_b32_f16 v6, v42, v49
	v_mov_b32_e32 v3, v16
	v_fmac_f16_e32 v131, v94, v130
	v_sub_f16_e32 v41, v56, v41
	v_sub_f16_e32 v46, v116, v129
	global_store_dword v[12:13], v6, off
	v_mad_u64_u32 v[6:7], null, s3, v77, v[3:4]
	v_mad_u64_u32 v[7:8], null, s2, v78, 0
	v_add_co_u32 v3, vcc_lo, v0, v4
	v_add_co_ci_u32_e32 v4, vcc_lo, v1, v5, vcc_lo
	v_mov_b32_e32 v12, v17
	v_sub_f16_e32 v48, v117, v131
	v_mov_b32_e32 v5, v8
	v_mov_b32_e32 v16, v6
	v_fma_f16 v56, v56, 2.0, -v41
	v_lshlrev_b64 v[9:10], 2, v[11:12]
	v_mad_u64_u32 v[11:12], null, s2, v76, 0
	v_mad_u64_u32 v[5:6], null, s3, v78, v[5:6]
	v_fma_f16 v94, v117, 2.0, -v48
	v_sub_f16_e32 v40, v61, v40
	v_lshlrev_b64 v[13:14], 2, v[15:16]
	v_mad_u64_u32 v[15:16], null, s2, v69, 0
	v_add_co_u32 v9, vcc_lo, v0, v9
	v_pack_b32_f16 v19, v56, v94
	v_mov_b32_e32 v8, v5
	v_fma_f16 v93, v116, 2.0, -v46
	v_fma_f16 v61, v61, 2.0, -v40
	v_add_co_ci_u32_e32 v10, vcc_lo, v1, v10, vcc_lo
	v_pack_b32_f16 v20, v41, v48
	v_mov_b32_e32 v6, v12
	v_add_co_u32 v12, vcc_lo, v0, v13
	global_store_dword v[3:4], v19, off
	global_store_dword v[9:10], v20, off
	v_lshlrev_b64 v[4:5], 2, v[7:8]
	v_add_co_ci_u32_e32 v13, vcc_lo, v1, v14, vcc_lo
	v_mad_u64_u32 v[17:18], null, s3, v76, v[6:7]
	v_pack_b32_f16 v6, v61, v93
	v_mov_b32_e32 v3, v16
	v_mad_u64_u32 v[9:10], null, s2, v75, 0
	v_lshrrev_b32_e32 v19, 5, v74
	global_store_dword v[12:13], v6, off
	v_mad_u64_u32 v[6:7], null, s3, v69, v[3:4]
	v_mov_b32_e32 v12, v17
	v_add_co_u32 v3, vcc_lo, v0, v4
	v_fma_f16 v28, v98, v45, -v28
	v_sub_f16_e32 v45, v115, v104
	v_lshlrev_b64 v[7:8], 2, v[11:12]
	v_mov_b32_e32 v16, v6
	v_sub_f16_e32 v38, v62, v38
	v_add_co_ci_u32_e32 v4, vcc_lo, v1, v5, vcc_lo
	v_mad_u64_u32 v[5:6], null, s2, v60, 0
	v_lshlrev_b64 v[11:12], 2, v[15:16]
	v_mul_hi_u32 v16, 0x5b05b06, v19
	v_add_co_u32 v7, vcc_lo, v0, v7
	v_fma_f16 v92, v115, 2.0, -v45
	v_fma_f16 v62, v62, 2.0, -v38
	v_mad_u64_u32 v[13:14], null, s3, v75, v[10:11]
	v_mad_u64_u32 v[14:15], null, s3, v60, v[6:7]
	v_pack_b32_f16 v17, v40, v46
	v_add_co_ci_u32_e32 v8, vcc_lo, v1, v8, vcc_lo
	v_pack_b32_f16 v18, v62, v92
	v_mov_b32_e32 v10, v13
	v_mad_u32_u24 v13, 0x5a0, v16, v74
	global_store_dword v[3:4], v17, off
	global_store_dword v[7:8], v18, off
	v_add_co_u32 v11, vcc_lo, v0, v11
	v_add_nc_u32_e32 v15, 0x5a0, v13
	v_lshlrev_b64 v[3:4], 2, v[9:10]
	v_mad_u64_u32 v[7:8], null, s2, v13, 0
	v_add_co_ci_u32_e32 v12, vcc_lo, v1, v12, vcc_lo
	v_mad_u64_u32 v[9:10], null, s2, v15, 0
	v_pack_b32_f16 v6, v38, v45
	v_sub_f16_e32 v33, v63, v33
	v_fma_f16 v91, v114, 2.0, -v44
	v_add_co_u32 v3, vcc_lo, v0, v3
	global_store_dword v[11:12], v6, off
	v_mov_b32_e32 v6, v14
	v_mad_u64_u32 v[11:12], null, s2, v73, 0
	v_mad_u64_u32 v[13:14], null, s3, v13, v[8:9]
	v_fma_f16 v63, v63, 2.0, -v33
	v_add_co_ci_u32_e32 v4, vcc_lo, v1, v4, vcc_lo
	v_lshlrev_b64 v[5:6], 2, v[5:6]
	v_sub_f16_e32 v28, v65, v28
	v_pack_b32_f16 v16, v63, v91
	v_mov_b32_e32 v8, v13
	v_mad_u64_u32 v[13:14], null, s3, v15, v[10:11]
	v_add_co_u32 v5, vcc_lo, v0, v5
	global_store_dword v[3:4], v16, off
	v_lshlrev_b64 v[3:4], 2, v[7:8]
	v_mad_u64_u32 v[7:8], null, s2, v39, 0
	v_mad_u64_u32 v[14:15], null, s3, v73, v[12:13]
	v_add_co_ci_u32_e32 v6, vcc_lo, v1, v6, vcc_lo
	v_pack_b32_f16 v10, v33, v44
	v_add_co_u32 v3, vcc_lo, v0, v3
	v_add_co_ci_u32_e32 v4, vcc_lo, v1, v4, vcc_lo
	global_store_dword v[5:6], v10, off
	v_mov_b32_e32 v10, v13
	v_mov_b32_e32 v5, v8
	;; [unrolled: 1-line block ×3, first 2 shown]
	v_sub_f16_e32 v26, v66, v26
	v_fma_f16 v90, v119, 2.0, -v34
	v_lshlrev_b64 v[8:9], 2, v[9:10]
	v_mad_u64_u32 v[5:6], null, s3, v39, v[5:6]
	v_lshlrev_b64 v[10:11], 2, v[11:12]
	v_mad_u64_u32 v[12:13], null, s2, v72, 0
	v_add_co_u32 v14, vcc_lo, v0, v8
	v_add_co_ci_u32_e32 v15, vcc_lo, v1, v9, vcc_lo
	v_mov_b32_e32 v8, v5
	v_add_co_u32 v5, vcc_lo, v0, v10
	v_mov_b32_e32 v9, v13
	v_add_co_ci_u32_e32 v6, vcc_lo, v1, v11, vcc_lo
	v_lshrrev_b32_e32 v11, 5, v71
	v_lshlrev_b64 v[7:8], 2, v[7:8]
	v_fma_f16 v65, v65, 2.0, -v28
	v_fma_f16 v89, v105, 2.0, -v30
	;; [unrolled: 1-line block ×3, first 2 shown]
	v_mad_u64_u32 v[9:10], null, s3, v72, v[9:10]
	v_mul_hi_u32 v10, 0x5b05b06, v11
	v_pack_b32_f16 v16, v65, v90
	v_pack_b32_f16 v17, v28, v34
	v_add_co_u32 v7, vcc_lo, v0, v7
	v_pack_b32_f16 v18, v66, v89
	v_add_co_ci_u32_e32 v8, vcc_lo, v1, v8, vcc_lo
	v_pack_b32_f16 v11, v26, v30
	global_store_dword v[3:4], v16, off
	global_store_dword v[14:15], v17, off
	;; [unrolled: 1-line block ×4, first 2 shown]
	v_mad_u32_u24 v14, 0x5a0, v10, v71
	v_mov_b32_e32 v13, v9
	v_lshrrev_b32_e32 v9, 5, v70
	v_mad_u64_u32 v[5:6], null, s2, v37, 0
	v_add_nc_u32_e32 v15, 0x5a0, v14
	v_mad_u64_u32 v[7:8], null, s2, v14, 0
	v_lshlrev_b64 v[3:4], 2, v[12:13]
	v_mul_hi_u32 v13, 0x5b05b06, v9
	v_mad_u64_u32 v[9:10], null, s2, v15, 0
	v_sub_f16_e32 v21, v68, v21
	v_fma_f16 v67, v67, 2.0, -v27
	v_mad_u64_u32 v[11:12], null, s3, v37, v[6:7]
	v_add_co_u32 v3, vcc_lo, v0, v3
	v_mad_u32_u24 v17, 0x5a0, v13, v70
	v_mad_u64_u32 v[12:13], null, s3, v14, v[8:9]
	v_mov_b32_e32 v8, v10
	v_fma_f16 v68, v68, 2.0, -v21
	v_mad_u64_u32 v[13:14], null, s2, v17, 0
	v_mov_b32_e32 v6, v11
	v_mad_u64_u32 v[10:11], null, s3, v15, v[8:9]
	v_add_nc_u32_e32 v15, 0x5a0, v17
	v_add_co_ci_u32_e32 v4, vcc_lo, v1, v4, vcc_lo
	v_pack_b32_f16 v16, v68, v67
	v_mov_b32_e32 v8, v12
	v_mad_u64_u32 v[11:12], null, s2, v15, 0
	v_lshlrev_b64 v[9:10], 2, v[9:10]
	global_store_dword v[3:4], v16, off
	v_lshlrev_b64 v[3:4], 2, v[5:6]
	v_mov_b32_e32 v5, v14
	v_lshlrev_b64 v[7:8], 2, v[7:8]
	v_sub_f16_e32 v47, v88, v47
	v_fma_f16 v59, v59, 2.0, -v25
	v_fma_f16 v87, v87, 2.0, -v85
	v_mad_u64_u32 v[5:6], null, s3, v17, v[5:6]
	v_mov_b32_e32 v6, v12
	v_add_co_u32 v3, vcc_lo, v0, v3
	v_add_co_ci_u32_e32 v4, vcc_lo, v1, v4, vcc_lo
	v_mad_u64_u32 v[15:16], null, s3, v15, v[6:7]
	v_mov_b32_e32 v14, v5
	v_add_co_u32 v5, vcc_lo, v0, v7
	v_add_co_ci_u32_e32 v6, vcc_lo, v1, v8, vcc_lo
	v_lshlrev_b64 v[7:8], 2, v[13:14]
	v_mov_b32_e32 v12, v15
	v_add_co_u32 v9, vcc_lo, v0, v9
	v_fma_f16 v55, v55, 2.0, -v2
	v_fma_f16 v88, v88, 2.0, -v47
	v_lshlrev_b64 v[11:12], 2, v[11:12]
	v_add_co_ci_u32_e32 v10, vcc_lo, v1, v10, vcc_lo
	v_add_co_u32 v7, vcc_lo, v0, v7
	v_pack_b32_f16 v17, v21, v27
	v_pack_b32_f16 v16, v87, v59
	v_add_co_ci_u32_e32 v8, vcc_lo, v1, v8, vcc_lo
	v_pack_b32_f16 v13, v85, v25
	v_add_co_u32 v0, vcc_lo, v0, v11
	v_pack_b32_f16 v14, v88, v55
	v_add_co_ci_u32_e32 v1, vcc_lo, v1, v12, vcc_lo
	v_pack_b32_f16 v2, v47, v2
	global_store_dword v[3:4], v17, off
	global_store_dword v[5:6], v16, off
	;; [unrolled: 1-line block ×5, first 2 shown]
.LBB0_15:
	s_endpgm
	.section	.rodata,"a",@progbits
	.p2align	6, 0x0
	.amdhsa_kernel fft_rtc_fwd_len2880_factors_10_6_6_2_2_2_wgs_96_tpt_96_halfLds_half_ip_CI_sbrr_dirReg
		.amdhsa_group_segment_fixed_size 0
		.amdhsa_private_segment_fixed_size 0
		.amdhsa_kernarg_size 88
		.amdhsa_user_sgpr_count 6
		.amdhsa_user_sgpr_private_segment_buffer 1
		.amdhsa_user_sgpr_dispatch_ptr 0
		.amdhsa_user_sgpr_queue_ptr 0
		.amdhsa_user_sgpr_kernarg_segment_ptr 1
		.amdhsa_user_sgpr_dispatch_id 0
		.amdhsa_user_sgpr_flat_scratch_init 0
		.amdhsa_user_sgpr_private_segment_size 0
		.amdhsa_wavefront_size32 1
		.amdhsa_uses_dynamic_stack 0
		.amdhsa_system_sgpr_private_segment_wavefront_offset 0
		.amdhsa_system_sgpr_workgroup_id_x 1
		.amdhsa_system_sgpr_workgroup_id_y 0
		.amdhsa_system_sgpr_workgroup_id_z 0
		.amdhsa_system_sgpr_workgroup_info 0
		.amdhsa_system_vgpr_workitem_id 0
		.amdhsa_next_free_vgpr 163
		.amdhsa_next_free_sgpr 23
		.amdhsa_reserve_vcc 1
		.amdhsa_reserve_flat_scratch 0
		.amdhsa_float_round_mode_32 0
		.amdhsa_float_round_mode_16_64 0
		.amdhsa_float_denorm_mode_32 3
		.amdhsa_float_denorm_mode_16_64 3
		.amdhsa_dx10_clamp 1
		.amdhsa_ieee_mode 1
		.amdhsa_fp16_overflow 0
		.amdhsa_workgroup_processor_mode 1
		.amdhsa_memory_ordered 1
		.amdhsa_forward_progress 0
		.amdhsa_shared_vgpr_count 0
		.amdhsa_exception_fp_ieee_invalid_op 0
		.amdhsa_exception_fp_denorm_src 0
		.amdhsa_exception_fp_ieee_div_zero 0
		.amdhsa_exception_fp_ieee_overflow 0
		.amdhsa_exception_fp_ieee_underflow 0
		.amdhsa_exception_fp_ieee_inexact 0
		.amdhsa_exception_int_div_zero 0
	.end_amdhsa_kernel
	.text
.Lfunc_end0:
	.size	fft_rtc_fwd_len2880_factors_10_6_6_2_2_2_wgs_96_tpt_96_halfLds_half_ip_CI_sbrr_dirReg, .Lfunc_end0-fft_rtc_fwd_len2880_factors_10_6_6_2_2_2_wgs_96_tpt_96_halfLds_half_ip_CI_sbrr_dirReg
                                        ; -- End function
	.section	.AMDGPU.csdata,"",@progbits
; Kernel info:
; codeLenInByte = 22632
; NumSgprs: 25
; NumVgprs: 163
; ScratchSize: 0
; MemoryBound: 0
; FloatMode: 240
; IeeeMode: 1
; LDSByteSize: 0 bytes/workgroup (compile time only)
; SGPRBlocks: 3
; VGPRBlocks: 20
; NumSGPRsForWavesPerEU: 25
; NumVGPRsForWavesPerEU: 163
; Occupancy: 5
; WaveLimiterHint : 1
; COMPUTE_PGM_RSRC2:SCRATCH_EN: 0
; COMPUTE_PGM_RSRC2:USER_SGPR: 6
; COMPUTE_PGM_RSRC2:TRAP_HANDLER: 0
; COMPUTE_PGM_RSRC2:TGID_X_EN: 1
; COMPUTE_PGM_RSRC2:TGID_Y_EN: 0
; COMPUTE_PGM_RSRC2:TGID_Z_EN: 0
; COMPUTE_PGM_RSRC2:TIDIG_COMP_CNT: 0
	.text
	.p2alignl 6, 3214868480
	.fill 48, 4, 3214868480
	.type	__hip_cuid_7f2cc8812bc8f1e2,@object ; @__hip_cuid_7f2cc8812bc8f1e2
	.section	.bss,"aw",@nobits
	.globl	__hip_cuid_7f2cc8812bc8f1e2
__hip_cuid_7f2cc8812bc8f1e2:
	.byte	0                               ; 0x0
	.size	__hip_cuid_7f2cc8812bc8f1e2, 1

	.ident	"AMD clang version 19.0.0git (https://github.com/RadeonOpenCompute/llvm-project roc-6.4.0 25133 c7fe45cf4b819c5991fe208aaa96edf142730f1d)"
	.section	".note.GNU-stack","",@progbits
	.addrsig
	.addrsig_sym __hip_cuid_7f2cc8812bc8f1e2
	.amdgpu_metadata
---
amdhsa.kernels:
  - .args:
      - .actual_access:  read_only
        .address_space:  global
        .offset:         0
        .size:           8
        .value_kind:     global_buffer
      - .offset:         8
        .size:           8
        .value_kind:     by_value
      - .actual_access:  read_only
        .address_space:  global
        .offset:         16
        .size:           8
        .value_kind:     global_buffer
      - .actual_access:  read_only
        .address_space:  global
        .offset:         24
        .size:           8
        .value_kind:     global_buffer
      - .offset:         32
        .size:           8
        .value_kind:     by_value
      - .actual_access:  read_only
        .address_space:  global
        .offset:         40
        .size:           8
        .value_kind:     global_buffer
      - .actual_access:  read_only
        .address_space:  global
        .offset:         48
        .size:           8
        .value_kind:     global_buffer
      - .offset:         56
        .size:           4
        .value_kind:     by_value
      - .actual_access:  read_only
        .address_space:  global
        .offset:         64
        .size:           8
        .value_kind:     global_buffer
      - .actual_access:  read_only
        .address_space:  global
        .offset:         72
        .size:           8
        .value_kind:     global_buffer
      - .address_space:  global
        .offset:         80
        .size:           8
        .value_kind:     global_buffer
    .group_segment_fixed_size: 0
    .kernarg_segment_align: 8
    .kernarg_segment_size: 88
    .language:       OpenCL C
    .language_version:
      - 2
      - 0
    .max_flat_workgroup_size: 96
    .name:           fft_rtc_fwd_len2880_factors_10_6_6_2_2_2_wgs_96_tpt_96_halfLds_half_ip_CI_sbrr_dirReg
    .private_segment_fixed_size: 0
    .sgpr_count:     25
    .sgpr_spill_count: 0
    .symbol:         fft_rtc_fwd_len2880_factors_10_6_6_2_2_2_wgs_96_tpt_96_halfLds_half_ip_CI_sbrr_dirReg.kd
    .uniform_work_group_size: 1
    .uses_dynamic_stack: false
    .vgpr_count:     163
    .vgpr_spill_count: 0
    .wavefront_size: 32
    .workgroup_processor_mode: 1
amdhsa.target:   amdgcn-amd-amdhsa--gfx1030
amdhsa.version:
  - 1
  - 2
...

	.end_amdgpu_metadata
